;; amdgpu-corpus repo=ggml-org/llama.cpp kind=compiled arch=gfx1100 opt=O3
	.text
	.amdgcn_target "amdgcn-amd-amdhsa--gfx1100"
	.amdhsa_code_object_version 6
	.section	.text._ZL21gated_linear_attn_f32ILi64EEviiiifPKfS1_S1_S1_S1_Pf,"axG",@progbits,_ZL21gated_linear_attn_f32ILi64EEviiiifPKfS1_S1_S1_S1_Pf,comdat
	.globl	_ZL21gated_linear_attn_f32ILi64EEviiiifPKfS1_S1_S1_S1_Pf ; -- Begin function _ZL21gated_linear_attn_f32ILi64EEviiiifPKfS1_S1_S1_S1_Pf
	.p2align	8
	.type	_ZL21gated_linear_attn_f32ILi64EEviiiifPKfS1_S1_S1_S1_Pf,@function
_ZL21gated_linear_attn_f32ILi64EEviiiifPKfS1_S1_S1_S1_Pf: ; @_ZL21gated_linear_attn_f32ILi64EEviiiifPKfS1_S1_S1_S1_Pf
; %bb.0:
	s_clause 0x1
	s_load_b128 s[20:23], s[0:1], 0x0
	s_load_b128 s[16:19], s[0:1], 0x38
	s_abs_i32 s5, s15
	s_mov_b32 s13, 0
	s_mov_b32 s12, exec_lo
	s_waitcnt lgkmcnt(0)
	s_abs_i32 s2, s23
	s_delay_alu instid0(SALU_CYCLE_1) | instskip(SKIP_1) | instid1(VALU_DEP_1)
	v_cvt_f32_u32_e32 v1, s2
	s_sub_i32 s4, 0, s2
	v_rcp_iflag_f32_e32 v1, v1
	s_waitcnt_depctr 0xfff
	v_mul_f32_e32 v1, 0x4f7ffffe, v1
	s_delay_alu instid0(VALU_DEP_1) | instskip(NEXT) | instid1(VALU_DEP_1)
	v_cvt_u32_f32_e32 v1, v1
	v_readfirstlane_b32 s3, v1
	s_delay_alu instid0(VALU_DEP_1) | instskip(NEXT) | instid1(SALU_CYCLE_1)
	s_mul_i32 s4, s4, s3
	s_mul_hi_u32 s4, s3, s4
	s_delay_alu instid0(SALU_CYCLE_1) | instskip(SKIP_4) | instid1(SALU_CYCLE_1)
	s_add_i32 s3, s3, s4
	s_xor_b32 s4, s15, s23
	s_mul_hi_u32 s3, s5, s3
	s_ashr_i32 s4, s4, 31
	s_mul_i32 s6, s3, s2
	s_sub_i32 s5, s5, s6
	s_add_i32 s6, s3, 1
	s_sub_i32 s7, s5, s2
	s_cmp_ge_u32 s5, s2
	s_cselect_b32 s3, s6, s3
	s_cselect_b32 s5, s7, s5
	s_add_i32 s6, s3, 1
	s_cmp_ge_u32 s5, s2
	s_cselect_b32 s2, s6, s3
	s_abs_i32 s7, s21
	s_xor_b32 s2, s2, s4
	s_delay_alu instid0(SALU_CYCLE_1) | instskip(NEXT) | instid1(SALU_CYCLE_1)
	s_sub_i32 s2, s2, s4
	s_mul_i32 s3, s2, s23
	s_mul_i32 s4, s22, s2
	s_sub_i32 s3, s15, s3
	s_lshl_b32 s4, s4, 6
	s_lshl_b32 s5, s3, 12
	s_delay_alu instid0(SALU_CYCLE_1) | instskip(SKIP_1) | instid1(SALU_CYCLE_1)
	v_add3_u32 v1, s5, s4, v0
	s_abs_i32 s4, s20
	s_sub_i32 s6, 0, s4
	s_delay_alu instid0(VALU_DEP_1)
	v_add_nc_u32_e32 v3, 0x400, v1
	v_ashrrev_i32_e32 v2, 31, v1
	v_add_nc_u32_e32 v5, 0x440, v1
	v_add_nc_u32_e32 v7, 0x480, v1
	v_add_nc_u32_e32 v9, 0x4c0, v1
	v_ashrrev_i32_e32 v4, 31, v3
	v_lshlrev_b64 v[20:21], 2, v[1:2]
	v_ashrrev_i32_e32 v6, 31, v5
	v_ashrrev_i32_e32 v8, 31, v7
	v_add_nc_u32_e32 v11, 0x500, v1
	v_lshlrev_b64 v[2:3], 2, v[3:4]
	v_ashrrev_i32_e32 v10, 31, v9
	v_lshlrev_b64 v[4:5], 2, v[5:6]
	v_add_co_u32 v20, vcc_lo, s16, v20
	v_add_nc_u32_e32 v13, 0x540, v1
	v_add_co_ci_u32_e32 v21, vcc_lo, s17, v21, vcc_lo
	v_lshlrev_b64 v[6:7], 2, v[7:8]
	v_add_co_u32 v2, vcc_lo, s16, v2
	v_ashrrev_i32_e32 v12, 31, v11
	v_add_nc_u32_e32 v15, 0x580, v1
	v_add_co_ci_u32_e32 v3, vcc_lo, s17, v3, vcc_lo
	v_lshlrev_b64 v[8:9], 2, v[9:10]
	v_add_co_u32 v4, vcc_lo, s16, v4
	v_ashrrev_i32_e32 v14, 31, v13
	v_add_nc_u32_e32 v17, 0x5c0, v1
	v_add_co_ci_u32_e32 v5, vcc_lo, s17, v5, vcc_lo
	v_lshlrev_b64 v[10:11], 2, v[11:12]
	v_add_co_u32 v6, vcc_lo, s16, v6
	v_ashrrev_i32_e32 v16, 31, v15
	v_add_co_ci_u32_e32 v7, vcc_lo, s17, v7, vcc_lo
	v_lshlrev_b64 v[12:13], 2, v[13:14]
	v_add_co_u32 v8, vcc_lo, s16, v8
	v_ashrrev_i32_e32 v18, 31, v17
	v_add_co_ci_u32_e32 v9, vcc_lo, s17, v9, vcc_lo
	v_add_nc_u32_e32 v19, 0x600, v1
	v_lshlrev_b64 v[14:15], 2, v[15:16]
	v_add_co_u32 v10, vcc_lo, s16, v10
	v_add_co_ci_u32_e32 v11, vcc_lo, s17, v11, vcc_lo
	v_lshlrev_b64 v[16:17], 2, v[17:18]
	v_add_co_u32 v12, vcc_lo, s16, v12
	s_clause 0xf
	global_load_b32 v70, v[20:21], off
	global_load_b32 v69, v[20:21], off offset:256
	global_load_b32 v68, v[20:21], off offset:512
	;; [unrolled: 1-line block ×15, first 2 shown]
	v_add_co_ci_u32_e32 v13, vcc_lo, s17, v13, vcc_lo
	v_ashrrev_i32_e32 v20, 31, v19
	v_add_nc_u32_e32 v18, 0x640, v1
	v_add_co_u32 v14, vcc_lo, s16, v14
	v_add_co_ci_u32_e32 v15, vcc_lo, s17, v15, vcc_lo
	v_add_nc_u32_e32 v22, 0x680, v1
	v_add_co_u32 v16, vcc_lo, s16, v16
	v_lshlrev_b64 v[20:21], 2, v[19:20]
	v_ashrrev_i32_e32 v19, 31, v18
	v_add_co_ci_u32_e32 v17, vcc_lo, s17, v17, vcc_lo
	s_clause 0x7
	global_load_b32 v54, v[2:3], off
	global_load_b32 v53, v[4:5], off
	;; [unrolled: 1-line block ×8, first 2 shown]
	v_add_nc_u32_e32 v4, 0x6c0, v1
	v_ashrrev_i32_e32 v23, 31, v22
	v_add_nc_u32_e32 v10, 0x700, v1
	v_lshlrev_b64 v[2:3], 2, v[18:19]
	v_add_nc_u32_e32 v12, 0x740, v1
	v_ashrrev_i32_e32 v5, 31, v4
	v_add_co_u32 v6, vcc_lo, s16, v20
	v_lshlrev_b64 v[8:9], 2, v[22:23]
	v_ashrrev_i32_e32 v11, 31, v10
	v_add_co_ci_u32_e32 v7, vcc_lo, s17, v21, vcc_lo
	v_add_nc_u32_e32 v14, 0x780, v1
	v_add_co_u32 v2, vcc_lo, s16, v2
	v_lshlrev_b64 v[4:5], 2, v[4:5]
	v_ashrrev_i32_e32 v13, 31, v12
	v_add_co_ci_u32_e32 v3, vcc_lo, s17, v3, vcc_lo
	v_add_nc_u32_e32 v16, 0x7c0, v1
	v_add_co_u32 v8, vcc_lo, s16, v8
	v_lshlrev_b64 v[10:11], 2, v[10:11]
	v_ashrrev_i32_e32 v15, 31, v14
	v_add_co_ci_u32_e32 v9, vcc_lo, s17, v9, vcc_lo
	v_add_co_u32 v4, vcc_lo, s16, v4
	v_lshlrev_b64 v[12:13], 2, v[12:13]
	v_ashrrev_i32_e32 v17, 31, v16
	v_add_co_ci_u32_e32 v5, vcc_lo, s17, v5, vcc_lo
	v_add_co_u32 v10, vcc_lo, s16, v10
	v_lshlrev_b64 v[14:15], 2, v[14:15]
	v_add_co_ci_u32_e32 v11, vcc_lo, s17, v11, vcc_lo
	v_add_nc_u32_e32 v18, 0x800, v1
	v_add_co_u32 v12, vcc_lo, s16, v12
	v_lshlrev_b64 v[16:17], 2, v[16:17]
	v_add_co_ci_u32_e32 v13, vcc_lo, s17, v13, vcc_lo
	v_add_nc_u32_e32 v20, 0x840, v1
	v_add_co_u32 v14, vcc_lo, s16, v14
	v_ashrrev_i32_e32 v19, 31, v18
	v_add_co_ci_u32_e32 v15, vcc_lo, s17, v15, vcc_lo
	v_add_nc_u32_e32 v22, 0x880, v1
	v_add_co_u32 v16, vcc_lo, s16, v16
	v_ashrrev_i32_e32 v21, 31, v20
	v_add_co_ci_u32_e32 v17, vcc_lo, s17, v17, vcc_lo
	s_clause 0x7
	global_load_b32 v46, v[6:7], off
	global_load_b32 v45, v[2:3], off
	global_load_b32 v44, v[8:9], off
	global_load_b32 v43, v[4:5], off
	global_load_b32 v42, v[10:11], off
	global_load_b32 v41, v[12:13], off
	global_load_b32 v40, v[14:15], off
	global_load_b32 v39, v[16:17], off
	v_add_nc_u32_e32 v4, 0x8c0, v1
	v_lshlrev_b64 v[18:19], 2, v[18:19]
	v_ashrrev_i32_e32 v23, 31, v22
	v_add_nc_u32_e32 v10, 0x900, v1
	v_lshlrev_b64 v[2:3], 2, v[20:21]
	v_ashrrev_i32_e32 v5, 31, v4
	v_add_nc_u32_e32 v12, 0x940, v1
	v_add_co_u32 v6, vcc_lo, s16, v18
	v_lshlrev_b64 v[8:9], 2, v[22:23]
	v_ashrrev_i32_e32 v11, 31, v10
	v_add_co_ci_u32_e32 v7, vcc_lo, s17, v19, vcc_lo
	v_add_nc_u32_e32 v14, 0x980, v1
	v_add_co_u32 v2, vcc_lo, s16, v2
	v_lshlrev_b64 v[4:5], 2, v[4:5]
	v_ashrrev_i32_e32 v13, 31, v12
	v_add_co_ci_u32_e32 v3, vcc_lo, s17, v3, vcc_lo
	v_add_nc_u32_e32 v16, 0x9c0, v1
	v_add_co_u32 v8, vcc_lo, s16, v8
	v_lshlrev_b64 v[10:11], 2, v[10:11]
	v_ashrrev_i32_e32 v15, 31, v14
	v_add_co_ci_u32_e32 v9, vcc_lo, s17, v9, vcc_lo
	v_add_co_u32 v4, vcc_lo, s16, v4
	v_lshlrev_b64 v[12:13], 2, v[12:13]
	v_ashrrev_i32_e32 v17, 31, v16
	v_add_co_ci_u32_e32 v5, vcc_lo, s17, v5, vcc_lo
	v_add_co_u32 v10, vcc_lo, s16, v10
	v_lshlrev_b64 v[14:15], 2, v[14:15]
	v_add_co_ci_u32_e32 v11, vcc_lo, s17, v11, vcc_lo
	v_add_nc_u32_e32 v18, 0xa00, v1
	v_add_co_u32 v12, vcc_lo, s16, v12
	v_lshlrev_b64 v[16:17], 2, v[16:17]
	v_add_co_ci_u32_e32 v13, vcc_lo, s17, v13, vcc_lo
	v_add_nc_u32_e32 v20, 0xa40, v1
	v_add_co_u32 v14, vcc_lo, s16, v14
	v_ashrrev_i32_e32 v19, 31, v18
	v_add_co_ci_u32_e32 v15, vcc_lo, s17, v15, vcc_lo
	v_add_nc_u32_e32 v22, 0xa80, v1
	v_add_co_u32 v16, vcc_lo, s16, v16
	v_ashrrev_i32_e32 v21, 31, v20
	v_add_co_ci_u32_e32 v17, vcc_lo, s17, v17, vcc_lo
	s_clause 0x7
	global_load_b32 v38, v[6:7], off
	global_load_b32 v37, v[2:3], off
	global_load_b32 v36, v[8:9], off
	global_load_b32 v35, v[4:5], off
	global_load_b32 v34, v[10:11], off
	global_load_b32 v33, v[12:13], off
	global_load_b32 v32, v[14:15], off
	global_load_b32 v31, v[16:17], off
	v_add_nc_u32_e32 v4, 0xac0, v1
	v_lshlrev_b64 v[18:19], 2, v[18:19]
	v_ashrrev_i32_e32 v23, 31, v22
	v_add_nc_u32_e32 v10, 0xb00, v1
	v_lshlrev_b64 v[2:3], 2, v[20:21]
	v_ashrrev_i32_e32 v5, 31, v4
	v_add_nc_u32_e32 v12, 0xb40, v1
	;; [unrolled: 49-line block ×3, first 2 shown]
	v_add_co_u32 v6, vcc_lo, s16, v18
	v_lshlrev_b64 v[8:9], 2, v[71:72]
	v_ashrrev_i32_e32 v11, 31, v10
	v_add_co_ci_u32_e32 v7, vcc_lo, s17, v19, vcc_lo
	v_add_nc_u32_e32 v14, 0xd80, v1
	v_add_co_u32 v2, vcc_lo, s16, v2
	v_lshlrev_b64 v[4:5], 2, v[4:5]
	v_ashrrev_i32_e32 v13, 31, v12
	v_add_co_ci_u32_e32 v3, vcc_lo, s17, v3, vcc_lo
	v_add_nc_u32_e32 v16, 0xdc0, v1
	v_add_co_u32 v8, vcc_lo, s16, v8
	v_lshlrev_b64 v[10:11], 2, v[10:11]
	v_ashrrev_i32_e32 v15, 31, v14
	v_add_co_ci_u32_e32 v9, vcc_lo, s17, v9, vcc_lo
	v_add_co_u32 v4, vcc_lo, s16, v4
	v_lshlrev_b64 v[12:13], 2, v[12:13]
	v_ashrrev_i32_e32 v17, 31, v16
	v_add_co_ci_u32_e32 v5, vcc_lo, s17, v5, vcc_lo
	v_add_co_u32 v10, vcc_lo, s16, v10
	v_lshlrev_b64 v[14:15], 2, v[14:15]
	v_add_nc_u32_e32 v18, 0xe00, v1
	v_add_co_ci_u32_e32 v11, vcc_lo, s17, v11, vcc_lo
	v_add_co_u32 v12, vcc_lo, s16, v12
	v_lshlrev_b64 v[16:17], 2, v[16:17]
	v_add_co_ci_u32_e32 v13, vcc_lo, s17, v13, vcc_lo
	v_add_nc_u32_e32 v71, 0xe40, v1
	v_add_co_u32 v14, vcc_lo, s16, v14
	v_ashrrev_i32_e32 v19, 31, v18
	v_add_co_ci_u32_e32 v15, vcc_lo, s17, v15, vcc_lo
	v_add_nc_u32_e32 v77, 0xe80, v1
	v_add_co_u32 v73, vcc_lo, s16, v16
	v_ashrrev_i32_e32 v72, 31, v71
	v_add_co_ci_u32_e32 v74, vcc_lo, s17, v17, vcc_lo
	v_lshlrev_b64 v[75:76], 2, v[18:19]
	s_clause 0x7
	global_load_b32 v22, v[6:7], off
	global_load_b32 v21, v[2:3], off
	;; [unrolled: 1-line block ×8, first 2 shown]
	v_add_nc_u32_e32 v4, 0xec0, v1
	v_ashrrev_i32_e32 v78, 31, v77
	v_add_nc_u32_e32 v10, 0xf00, v1
	v_lshlrev_b64 v[2:3], 2, v[71:72]
	v_add_nc_u32_e32 v12, 0xf40, v1
	v_ashrrev_i32_e32 v5, 31, v4
	v_add_co_u32 v6, vcc_lo, s16, v75
	v_lshlrev_b64 v[8:9], 2, v[77:78]
	v_ashrrev_i32_e32 v11, 31, v10
	v_add_co_ci_u32_e32 v7, vcc_lo, s17, v76, vcc_lo
	v_add_co_u32 v2, vcc_lo, s16, v2
	v_lshlrev_b64 v[4:5], 2, v[4:5]
	v_ashrrev_i32_e32 v13, 31, v12
	v_add_nc_u32_e32 v71, 0xf80, v1
	v_add_co_ci_u32_e32 v3, vcc_lo, s17, v3, vcc_lo
	v_add_co_u32 v8, vcc_lo, s16, v8
	v_lshlrev_b64 v[10:11], 2, v[10:11]
	v_add_nc_u32_e32 v73, 0xfc0, v1
	v_add_co_ci_u32_e32 v9, vcc_lo, s17, v9, vcc_lo
	v_add_co_u32 v4, vcc_lo, s16, v4
	v_lshlrev_b64 v[12:13], 2, v[12:13]
	v_ashrrev_i32_e32 v72, 31, v71
	v_add_co_ci_u32_e32 v5, vcc_lo, s17, v5, vcc_lo
	v_add_co_u32 v75, vcc_lo, s16, v10
	v_ashrrev_i32_e32 v74, 31, v73
	v_add_co_ci_u32_e32 v76, vcc_lo, s17, v11, vcc_lo
	v_lshlrev_b64 v[10:11], 2, v[71:72]
	v_add_co_u32 v71, vcc_lo, s16, v12
	v_add_co_ci_u32_e32 v72, vcc_lo, s17, v13, vcc_lo
	v_lshlrev_b64 v[12:13], 2, v[73:74]
	s_delay_alu instid0(VALU_DEP_4) | instskip(SKIP_1) | instid1(VALU_DEP_3)
	v_add_co_u32 v73, vcc_lo, s16, v10
	v_add_co_ci_u32_e32 v74, vcc_lo, s17, v11, vcc_lo
	v_add_co_u32 v77, vcc_lo, s16, v12
	s_delay_alu instid0(VALU_DEP_4)
	v_add_co_ci_u32_e32 v78, vcc_lo, s17, v13, vcc_lo
	s_clause 0x7
	global_load_b32 v14, v[6:7], off
	global_load_b32 v13, v[2:3], off
	;; [unrolled: 1-line block ×8, first 2 shown]
	v_cvt_f32_u32_e32 v2, s4
	v_lshl_add_u32 v6, s3, 6, v0
	s_delay_alu instid0(VALU_DEP_2) | instskip(SKIP_2) | instid1(VALU_DEP_1)
	v_rcp_iflag_f32_e32 v2, v2
	s_waitcnt_depctr 0xfff
	v_mul_f32_e32 v2, 0x4f7ffffe, v2
	v_cvt_u32_f32_e32 v2, v2
	s_delay_alu instid0(VALU_DEP_1) | instskip(NEXT) | instid1(VALU_DEP_1)
	v_readfirstlane_b32 s5, v2
	s_mul_i32 s6, s6, s5
	s_delay_alu instid0(SALU_CYCLE_1) | instskip(NEXT) | instid1(SALU_CYCLE_1)
	s_mul_hi_u32 s6, s5, s6
	s_add_i32 s5, s5, s6
	s_xor_b32 s6, s21, s20
	s_mul_hi_u32 s5, s7, s5
	s_ashr_i32 s6, s6, 31
	s_mul_i32 s8, s5, s4
	s_delay_alu instid0(SALU_CYCLE_1)
	s_sub_i32 s7, s7, s8
	s_add_i32 s8, s5, 1
	s_sub_i32 s9, s7, s4
	s_cmp_ge_u32 s7, s4
	s_cselect_b32 s5, s8, s5
	s_cselect_b32 s7, s9, s7
	s_add_i32 s8, s5, 1
	s_cmp_ge_u32 s7, s4
	s_cselect_b32 s4, s8, s5
	s_delay_alu instid0(SALU_CYCLE_1) | instskip(NEXT) | instid1(SALU_CYCLE_1)
	s_xor_b32 s4, s4, s6
	s_sub_i32 s3, s4, s6
	s_delay_alu instid0(SALU_CYCLE_1) | instskip(SKIP_3) | instid1(SALU_CYCLE_1)
	s_mul_i32 s3, s3, s22
	s_waitcnt vmcnt(0)
	v_mad_u64_u32 v[2:3], null, s3, s2, v[6:7]
	s_add_i32 s2, s2, 1
	v_mad_u64_u32 v[4:5], null, s3, s2, v[6:7]
	s_delay_alu instid0(VALU_DEP_1)
	v_cmpx_lt_i32_e64 v2, v4
	s_cbranch_execz .LBB0_4
; %bb.1:
	s_clause 0x1
	s_load_b32 s14, s[0:1], 0x10
	s_load_b256 s[4:11], s[0:1], 0x18
	v_ashrrev_i32_e32 v3, 31, v2
	v_lshlrev_b32_e32 v0, 2, v0
	s_ashr_i32 s23, s22, 31
	s_delay_alu instid0(SALU_CYCLE_1) | instskip(NEXT) | instid1(VALU_DEP_2)
	s_lshl_b64 s[2:3], s[22:23], 2
	v_lshlrev_b64 v[5:6], 2, v[2:3]
	v_mov_b32_e32 v3, 0
	v_add_nc_u32_e32 v71, 0x100, v0
	v_add_nc_u32_e32 v72, 0x200, v0
.LBB0_2:                                ; =>This Inner Loop Header: Depth=1
	s_waitcnt lgkmcnt(0)
	s_delay_alu instid0(VALU_DEP_4)
	v_add_co_u32 v73, vcc_lo, s4, v5
	v_add_co_ci_u32_e32 v74, vcc_lo, s5, v6, vcc_lo
	v_add_co_u32 v75, vcc_lo, s8, v5
	v_add_co_ci_u32_e32 v76, vcc_lo, s9, v6, vcc_lo
	;; [unrolled: 2-line block ×3, first 2 shown]
	s_waitcnt_vscnt null, 0x0
	s_barrier
	buffer_gl0_inv
	global_load_b32 v79, v[73:74], off
	global_load_b32 v75, v[75:76], off
	;; [unrolled: 1-line block ×3, first 2 shown]
	v_add_co_u32 v73, vcc_lo, s6, v5
	v_add_co_ci_u32_e32 v74, vcc_lo, s7, v6, vcc_lo
	v_add_nc_u32_e32 v2, s22, v2
	s_waitcnt vmcnt(2)
	ds_store_b32 v0, v79
	s_waitcnt vmcnt(1)
	ds_store_b32 v71, v75
	;; [unrolled: 2-line block ×3, first 2 shown]
	s_waitcnt lgkmcnt(0)
	s_barrier
	buffer_gl0_inv
	global_load_b32 v73, v[73:74], off
	ds_load_b128 v[74:77], v3 offset:512
	ds_load_b128 v[78:81], v3 offset:528
	;; [unrolled: 1-line block ×4, first 2 shown]
	v_cmp_ge_i32_e64 s0, v2, v4
	s_delay_alu instid0(VALU_DEP_1)
	s_or_b32 s13, s0, s13
	s_waitcnt lgkmcnt(3)
	v_dual_mul_f32 v70, v70, v74 :: v_dual_mul_f32 v69, v69, v75
	v_dual_mul_f32 v68, v68, v76 :: v_dual_mul_f32 v67, v67, v77
	ds_load_b128 v[74:77], v3 offset:576
	s_waitcnt lgkmcnt(3)
	v_dual_mul_f32 v66, v66, v78 :: v_dual_mul_f32 v65, v65, v79
	v_dual_mul_f32 v64, v64, v80 :: v_dual_mul_f32 v63, v63, v81
	ds_load_b128 v[78:81], v3 offset:592
	;; [unrolled: 4-line block ×11, first 2 shown]
	s_waitcnt lgkmcnt(3)
	v_dual_mul_f32 v26, v26, v86 :: v_dual_mul_f32 v25, v25, v87
	v_dual_mul_f32 v24, v24, v88 :: v_dual_mul_f32 v23, v23, v89
	ds_load_b128 v[86:89], v3
	s_waitcnt lgkmcnt(3)
	v_dual_mul_f32 v22, v22, v74 :: v_dual_mul_f32 v21, v21, v75
	v_dual_mul_f32 v20, v20, v76 :: v_dual_mul_f32 v19, v19, v77
	ds_load_b128 v[74:77], v3 offset:16
	s_waitcnt lgkmcnt(3)
	v_dual_mul_f32 v18, v18, v78 :: v_dual_mul_f32 v17, v17, v79
	v_dual_mul_f32 v16, v16, v80 :: v_dual_mul_f32 v15, v15, v81
	ds_load_b128 v[78:81], v3 offset:752
	;; [unrolled: 4-line block ×3, first 2 shown]
	s_waitcnt lgkmcnt(1)
	v_mul_f32_e32 v10, v10, v78
	v_dual_mul_f32 v8, v8, v80 :: v_dual_mul_f32 v7, v7, v81
	v_mul_f32_e32 v9, v9, v79
	s_waitcnt vmcnt(0)
	v_fmac_f32_e32 v70, v73, v86
	v_fmac_f32_e32 v68, v73, v88
	;; [unrolled: 1-line block ×5, first 2 shown]
	ds_load_b128 v[86:89], v3 offset:48
	v_fmac_f32_e32 v65, v73, v75
	v_fmac_f32_e32 v64, v73, v76
	v_fmac_f32_e32 v63, v73, v77
	ds_load_b128 v[74:77], v3 offset:64
	s_waitcnt lgkmcnt(2)
	v_fmac_f32_e32 v62, v73, v82
	v_fmac_f32_e32 v61, v73, v83
	v_fmac_f32_e32 v60, v73, v84
	v_fmac_f32_e32 v59, v73, v85
	ds_load_b128 v[82:85], v3 offset:80
	s_waitcnt lgkmcnt(2)
	v_fmac_f32_e32 v58, v73, v86
	;; [unrolled: 6-line block ×11, first 2 shown]
	v_fmac_f32_e32 v21, v73, v75
	v_fmac_f32_e32 v20, v73, v76
	;; [unrolled: 1-line block ×3, first 2 shown]
	ds_load_b128 v[74:77], v3 offset:272
	v_fma_f32 v90, v70, v82, 0
	s_delay_alu instid0(VALU_DEP_1) | instskip(SKIP_1) | instid1(VALU_DEP_1)
	v_fmac_f32_e32 v90, v69, v83
	s_waitcnt lgkmcnt(1)
	v_dual_fmac_f32 v90, v68, v84 :: v_dual_fmac_f32 v17, v73, v87
	s_delay_alu instid0(VALU_DEP_1)
	v_fmac_f32_e32 v90, v67, v85
	ds_load_b128 v[82:85], v3 offset:288
	v_fmac_f32_e32 v18, v73, v86
	v_fmac_f32_e32 v16, v73, v88
	s_waitcnt lgkmcnt(1)
	v_dual_fmac_f32 v15, v73, v89 :: v_dual_fmac_f32 v90, v66, v74
	ds_load_b128 v[86:89], v3 offset:224
	v_fmac_f32_e32 v90, v65, v75
	s_delay_alu instid0(VALU_DEP_1) | instskip(NEXT) | instid1(VALU_DEP_1)
	v_fmac_f32_e32 v90, v64, v76
	v_fmac_f32_e32 v90, v63, v77
	ds_load_b128 v[74:77], v3 offset:304
	s_waitcnt lgkmcnt(2)
	v_fmac_f32_e32 v90, v62, v82
	s_delay_alu instid0(VALU_DEP_1) | instskip(NEXT) | instid1(VALU_DEP_1)
	v_fmac_f32_e32 v90, v61, v83
	v_fmac_f32_e32 v90, v60, v84
	s_delay_alu instid0(VALU_DEP_1) | instskip(SKIP_3) | instid1(VALU_DEP_1)
	v_fmac_f32_e32 v90, v59, v85
	ds_load_b128 v[82:85], v3 offset:320
	s_waitcnt lgkmcnt(1)
	v_fmac_f32_e32 v90, v58, v74
	v_fmac_f32_e32 v90, v57, v75
	s_delay_alu instid0(VALU_DEP_1) | instskip(NEXT) | instid1(VALU_DEP_1)
	v_fmac_f32_e32 v90, v56, v76
	v_fmac_f32_e32 v90, v55, v77
	ds_load_b128 v[74:77], v3 offset:336
	s_waitcnt lgkmcnt(1)
	v_fmac_f32_e32 v90, v54, v82
	s_delay_alu instid0(VALU_DEP_1) | instskip(NEXT) | instid1(VALU_DEP_1)
	v_fmac_f32_e32 v90, v53, v83
	v_fmac_f32_e32 v90, v52, v84
	s_delay_alu instid0(VALU_DEP_1) | instskip(SKIP_3) | instid1(VALU_DEP_1)
	v_fmac_f32_e32 v90, v51, v85
	ds_load_b128 v[82:85], v3 offset:352
	s_waitcnt lgkmcnt(1)
	v_fmac_f32_e32 v90, v50, v74
	;; [unrolled: 15-line block ×6, first 2 shown]
	v_fmac_f32_e32 v90, v17, v75
	s_delay_alu instid0(VALU_DEP_1) | instskip(NEXT) | instid1(VALU_DEP_1)
	v_fmac_f32_e32 v90, v16, v76
	v_fmac_f32_e32 v90, v15, v77
	ds_load_b128 v[74:77], v3 offset:240
	v_fmac_f32_e32 v14, v73, v86
	v_fmac_f32_e32 v13, v73, v87
	;; [unrolled: 1-line block ×4, first 2 shown]
	ds_load_b128 v[86:89], v3 offset:496
	s_waitcnt lgkmcnt(2)
	v_fmac_f32_e32 v90, v14, v82
	s_delay_alu instid0(VALU_DEP_1) | instskip(NEXT) | instid1(VALU_DEP_1)
	v_fmac_f32_e32 v90, v13, v83
	v_fmac_f32_e32 v90, v12, v84
	s_waitcnt lgkmcnt(1)
	v_fmac_f32_e32 v10, v73, v74
	s_delay_alu instid0(VALU_DEP_2)
	v_dual_fmac_f32 v90, v11, v85 :: v_dual_fmac_f32 v9, v73, v75
	v_fmac_f32_e32 v8, v73, v76
	v_fmac_f32_e32 v7, v73, v77
	v_add_co_u32 v74, vcc_lo, s18, v5
	s_waitcnt lgkmcnt(0)
	v_fmac_f32_e32 v90, v10, v86
	v_add_co_ci_u32_e32 v75, vcc_lo, s19, v6, vcc_lo
	v_add_co_u32 v5, vcc_lo, v5, s2
	s_delay_alu instid0(VALU_DEP_3) | instskip(SKIP_1) | instid1(VALU_DEP_2)
	v_fmac_f32_e32 v90, v9, v87
	v_add_co_ci_u32_e32 v6, vcc_lo, s3, v6, vcc_lo
	v_fmac_f32_e32 v90, v8, v88
	s_delay_alu instid0(VALU_DEP_1) | instskip(NEXT) | instid1(VALU_DEP_1)
	v_fmac_f32_e32 v90, v7, v89
	v_mul_f32_e32 v73, s14, v90
	global_store_b32 v[74:75], v73, off
	s_and_not1_b32 exec_lo, exec_lo, s13
	s_cbranch_execnz .LBB0_2
; %bb.3:
	s_or_b32 exec_lo, exec_lo, s13
.LBB0_4:
	s_delay_alu instid0(SALU_CYCLE_1) | instskip(SKIP_1) | instid1(VALU_DEP_1)
	s_or_b32 exec_lo, exec_lo, s12
	v_mad_u64_u32 v[2:3], null, s22, s21, v[1:2]
	v_ashrrev_i32_e32 v3, 31, v2
	v_add_nc_u32_e32 v5, 0x440, v2
	v_add_nc_u32_e32 v0, 0x400, v2
	;; [unrolled: 1-line block ×3, first 2 shown]
	s_delay_alu instid0(VALU_DEP_4) | instskip(NEXT) | instid1(VALU_DEP_4)
	v_lshlrev_b64 v[3:4], 2, v[2:3]
	v_ashrrev_i32_e32 v6, 31, v5
	s_delay_alu instid0(VALU_DEP_4) | instskip(NEXT) | instid1(VALU_DEP_4)
	v_ashrrev_i32_e32 v1, 31, v0
	v_ashrrev_i32_e32 v72, 31, v71
	s_delay_alu instid0(VALU_DEP_4) | instskip(SKIP_1) | instid1(VALU_DEP_4)
	v_add_co_u32 v3, vcc_lo, s18, v3
	v_add_co_ci_u32_e32 v4, vcc_lo, s19, v4, vcc_lo
	v_lshlrev_b64 v[0:1], 2, v[0:1]
	s_clause 0xf
	global_store_b32 v[3:4], v70, off
	global_store_b32 v[3:4], v69, off offset:256
	global_store_b32 v[3:4], v68, off offset:512
	;; [unrolled: 1-line block ×15, first 2 shown]
	v_lshlrev_b64 v[3:4], 2, v[5:6]
	v_add_nc_u32_e32 v5, 0x4c0, v2
	v_add_nc_u32_e32 v57, 0x500, v2
	;; [unrolled: 1-line block ×3, first 2 shown]
	v_add_co_u32 v0, vcc_lo, s18, v0
	s_delay_alu instid0(VALU_DEP_4)
	v_ashrrev_i32_e32 v6, 31, v5
	v_lshlrev_b64 v[55:56], 2, v[71:72]
	v_ashrrev_i32_e32 v58, 31, v57
	v_add_co_ci_u32_e32 v1, vcc_lo, s19, v1, vcc_lo
	v_add_nc_u32_e32 v61, 0x580, v2
	v_add_co_u32 v3, vcc_lo, s18, v3
	v_lshlrev_b64 v[5:6], 2, v[5:6]
	v_ashrrev_i32_e32 v60, 31, v59
	v_add_co_ci_u32_e32 v4, vcc_lo, s19, v4, vcc_lo
	v_add_nc_u32_e32 v63, 0x5c0, v2
	v_add_co_u32 v55, vcc_lo, s18, v55
	v_lshlrev_b64 v[57:58], 2, v[57:58]
	v_ashrrev_i32_e32 v62, 31, v61
	v_add_co_ci_u32_e32 v56, vcc_lo, s19, v56, vcc_lo
	v_add_co_u32 v5, vcc_lo, s18, v5
	v_lshlrev_b64 v[59:60], 2, v[59:60]
	v_ashrrev_i32_e32 v64, 31, v63
	v_add_co_ci_u32_e32 v6, vcc_lo, s19, v6, vcc_lo
	v_add_co_u32 v57, vcc_lo, s18, v57
	v_lshlrev_b64 v[61:62], 2, v[61:62]
	v_add_co_ci_u32_e32 v58, vcc_lo, s19, v58, vcc_lo
	v_add_nc_u32_e32 v65, 0x600, v2
	v_add_co_u32 v59, vcc_lo, s18, v59
	v_lshlrev_b64 v[63:64], 2, v[63:64]
	v_add_co_ci_u32_e32 v60, vcc_lo, s19, v60, vcc_lo
	v_add_nc_u32_e32 v67, 0x640, v2
	v_add_co_u32 v61, vcc_lo, s18, v61
	v_ashrrev_i32_e32 v66, 31, v65
	v_add_co_ci_u32_e32 v62, vcc_lo, s19, v62, vcc_lo
	v_add_nc_u32_e32 v69, 0x680, v2
	v_add_co_u32 v63, vcc_lo, s18, v63
	v_ashrrev_i32_e32 v68, 31, v67
	v_add_co_ci_u32_e32 v64, vcc_lo, s19, v64, vcc_lo
	s_clause 0x7
	global_store_b32 v[0:1], v54, off
	global_store_b32 v[3:4], v53, off
	global_store_b32 v[55:56], v52, off
	global_store_b32 v[5:6], v51, off
	global_store_b32 v[57:58], v50, off
	global_store_b32 v[59:60], v49, off
	global_store_b32 v[61:62], v48, off
	global_store_b32 v[63:64], v47, off
	v_add_nc_u32_e32 v3, 0x6c0, v2
	v_lshlrev_b64 v[65:66], 2, v[65:66]
	v_ashrrev_i32_e32 v70, 31, v69
	v_add_nc_u32_e32 v49, 0x700, v2
	v_lshlrev_b64 v[0:1], 2, v[67:68]
	v_ashrrev_i32_e32 v4, 31, v3
	v_add_nc_u32_e32 v51, 0x740, v2
	v_add_co_u32 v5, vcc_lo, s18, v65
	v_lshlrev_b64 v[47:48], 2, v[69:70]
	v_ashrrev_i32_e32 v50, 31, v49
	v_add_co_ci_u32_e32 v6, vcc_lo, s19, v66, vcc_lo
	v_add_nc_u32_e32 v53, 0x780, v2
	v_add_co_u32 v0, vcc_lo, s18, v0
	v_lshlrev_b64 v[3:4], 2, v[3:4]
	v_ashrrev_i32_e32 v52, 31, v51
	v_add_co_ci_u32_e32 v1, vcc_lo, s19, v1, vcc_lo
	v_add_nc_u32_e32 v55, 0x7c0, v2
	v_add_co_u32 v47, vcc_lo, s18, v47
	v_lshlrev_b64 v[49:50], 2, v[49:50]
	v_ashrrev_i32_e32 v54, 31, v53
	v_add_co_ci_u32_e32 v48, vcc_lo, s19, v48, vcc_lo
	v_add_co_u32 v3, vcc_lo, s18, v3
	v_lshlrev_b64 v[51:52], 2, v[51:52]
	v_ashrrev_i32_e32 v56, 31, v55
	v_add_co_ci_u32_e32 v4, vcc_lo, s19, v4, vcc_lo
	v_add_co_u32 v49, vcc_lo, s18, v49
	v_lshlrev_b64 v[53:54], 2, v[53:54]
	v_add_co_ci_u32_e32 v50, vcc_lo, s19, v50, vcc_lo
	v_add_nc_u32_e32 v57, 0x800, v2
	v_add_co_u32 v51, vcc_lo, s18, v51
	v_lshlrev_b64 v[55:56], 2, v[55:56]
	v_add_co_ci_u32_e32 v52, vcc_lo, s19, v52, vcc_lo
	v_add_nc_u32_e32 v59, 0x840, v2
	v_add_co_u32 v53, vcc_lo, s18, v53
	v_ashrrev_i32_e32 v58, 31, v57
	v_add_co_ci_u32_e32 v54, vcc_lo, s19, v54, vcc_lo
	v_add_nc_u32_e32 v61, 0x880, v2
	v_add_co_u32 v55, vcc_lo, s18, v55
	v_ashrrev_i32_e32 v60, 31, v59
	v_add_co_ci_u32_e32 v56, vcc_lo, s19, v56, vcc_lo
	s_clause 0x7
	global_store_b32 v[5:6], v46, off
	global_store_b32 v[0:1], v45, off
	global_store_b32 v[47:48], v44, off
	global_store_b32 v[3:4], v43, off
	global_store_b32 v[49:50], v42, off
	global_store_b32 v[51:52], v41, off
	global_store_b32 v[53:54], v40, off
	global_store_b32 v[55:56], v39, off
	v_add_nc_u32_e32 v3, 0x8c0, v2
	v_lshlrev_b64 v[57:58], 2, v[57:58]
	v_ashrrev_i32_e32 v62, 31, v61
	v_add_nc_u32_e32 v41, 0x900, v2
	v_lshlrev_b64 v[0:1], 2, v[59:60]
	v_ashrrev_i32_e32 v4, 31, v3
	v_add_nc_u32_e32 v43, 0x940, v2
	v_add_co_u32 v5, vcc_lo, s18, v57
	v_lshlrev_b64 v[39:40], 2, v[61:62]
	v_ashrrev_i32_e32 v42, 31, v41
	v_add_co_ci_u32_e32 v6, vcc_lo, s19, v58, vcc_lo
	v_add_nc_u32_e32 v45, 0x980, v2
	v_add_co_u32 v0, vcc_lo, s18, v0
	v_lshlrev_b64 v[3:4], 2, v[3:4]
	v_ashrrev_i32_e32 v44, 31, v43
	v_add_co_ci_u32_e32 v1, vcc_lo, s19, v1, vcc_lo
	v_add_nc_u32_e32 v47, 0x9c0, v2
	v_add_co_u32 v39, vcc_lo, s18, v39
	v_lshlrev_b64 v[41:42], 2, v[41:42]
	v_ashrrev_i32_e32 v46, 31, v45
	v_add_co_ci_u32_e32 v40, vcc_lo, s19, v40, vcc_lo
	v_add_co_u32 v3, vcc_lo, s18, v3
	v_lshlrev_b64 v[43:44], 2, v[43:44]
	v_ashrrev_i32_e32 v48, 31, v47
	v_add_co_ci_u32_e32 v4, vcc_lo, s19, v4, vcc_lo
	v_add_co_u32 v41, vcc_lo, s18, v41
	v_lshlrev_b64 v[45:46], 2, v[45:46]
	v_add_co_ci_u32_e32 v42, vcc_lo, s19, v42, vcc_lo
	v_add_nc_u32_e32 v49, 0xa00, v2
	v_add_co_u32 v43, vcc_lo, s18, v43
	v_lshlrev_b64 v[47:48], 2, v[47:48]
	v_add_co_ci_u32_e32 v44, vcc_lo, s19, v44, vcc_lo
	v_add_nc_u32_e32 v51, 0xa40, v2
	v_add_co_u32 v45, vcc_lo, s18, v45
	v_ashrrev_i32_e32 v50, 31, v49
	v_add_co_ci_u32_e32 v46, vcc_lo, s19, v46, vcc_lo
	v_add_nc_u32_e32 v53, 0xa80, v2
	v_add_co_u32 v47, vcc_lo, s18, v47
	v_ashrrev_i32_e32 v52, 31, v51
	v_add_co_ci_u32_e32 v48, vcc_lo, s19, v48, vcc_lo
	s_clause 0x7
	global_store_b32 v[5:6], v38, off
	global_store_b32 v[0:1], v37, off
	global_store_b32 v[39:40], v36, off
	global_store_b32 v[3:4], v35, off
	global_store_b32 v[41:42], v34, off
	global_store_b32 v[43:44], v33, off
	global_store_b32 v[45:46], v32, off
	global_store_b32 v[47:48], v31, off
	v_add_nc_u32_e32 v3, 0xac0, v2
	v_lshlrev_b64 v[49:50], 2, v[49:50]
	v_ashrrev_i32_e32 v54, 31, v53
	v_add_nc_u32_e32 v33, 0xb00, v2
	v_lshlrev_b64 v[0:1], 2, v[51:52]
	v_ashrrev_i32_e32 v4, 31, v3
	v_add_nc_u32_e32 v35, 0xb40, v2
	v_add_co_u32 v5, vcc_lo, s18, v49
	v_lshlrev_b64 v[31:32], 2, v[53:54]
	v_ashrrev_i32_e32 v34, 31, v33
	v_add_co_ci_u32_e32 v6, vcc_lo, s19, v50, vcc_lo
	v_add_nc_u32_e32 v37, 0xb80, v2
	v_add_co_u32 v0, vcc_lo, s18, v0
	v_lshlrev_b64 v[3:4], 2, v[3:4]
	v_ashrrev_i32_e32 v36, 31, v35
	v_add_co_ci_u32_e32 v1, vcc_lo, s19, v1, vcc_lo
	v_add_nc_u32_e32 v39, 0xbc0, v2
	v_add_co_u32 v31, vcc_lo, s18, v31
	v_lshlrev_b64 v[33:34], 2, v[33:34]
	v_ashrrev_i32_e32 v38, 31, v37
	v_add_co_ci_u32_e32 v32, vcc_lo, s19, v32, vcc_lo
	v_add_co_u32 v3, vcc_lo, s18, v3
	v_lshlrev_b64 v[35:36], 2, v[35:36]
	v_ashrrev_i32_e32 v40, 31, v39
	v_add_co_ci_u32_e32 v4, vcc_lo, s19, v4, vcc_lo
	v_add_co_u32 v33, vcc_lo, s18, v33
	v_lshlrev_b64 v[37:38], 2, v[37:38]
	v_add_co_ci_u32_e32 v34, vcc_lo, s19, v34, vcc_lo
	v_add_nc_u32_e32 v41, 0xc00, v2
	v_add_co_u32 v35, vcc_lo, s18, v35
	v_lshlrev_b64 v[39:40], 2, v[39:40]
	v_add_co_ci_u32_e32 v36, vcc_lo, s19, v36, vcc_lo
	v_add_nc_u32_e32 v43, 0xc40, v2
	v_add_co_u32 v37, vcc_lo, s18, v37
	v_ashrrev_i32_e32 v42, 31, v41
	v_add_co_ci_u32_e32 v38, vcc_lo, s19, v38, vcc_lo
	v_add_nc_u32_e32 v45, 0xc80, v2
	v_add_co_u32 v39, vcc_lo, s18, v39
	v_ashrrev_i32_e32 v44, 31, v43
	v_add_co_ci_u32_e32 v40, vcc_lo, s19, v40, vcc_lo
	s_clause 0x7
	global_store_b32 v[5:6], v30, off
	global_store_b32 v[0:1], v29, off
	global_store_b32 v[31:32], v28, off
	global_store_b32 v[3:4], v27, off
	global_store_b32 v[33:34], v26, off
	global_store_b32 v[35:36], v25, off
	global_store_b32 v[37:38], v24, off
	global_store_b32 v[39:40], v23, off
	v_add_nc_u32_e32 v3, 0xcc0, v2
	v_lshlrev_b64 v[41:42], 2, v[41:42]
	v_ashrrev_i32_e32 v46, 31, v45
	v_add_nc_u32_e32 v25, 0xd00, v2
	v_lshlrev_b64 v[0:1], 2, v[43:44]
	v_ashrrev_i32_e32 v4, 31, v3
	v_add_nc_u32_e32 v27, 0xd40, v2
	v_add_co_u32 v5, vcc_lo, s18, v41
	v_lshlrev_b64 v[23:24], 2, v[45:46]
	v_ashrrev_i32_e32 v26, 31, v25
	v_add_co_ci_u32_e32 v6, vcc_lo, s19, v42, vcc_lo
	v_add_nc_u32_e32 v29, 0xd80, v2
	v_add_co_u32 v0, vcc_lo, s18, v0
	v_lshlrev_b64 v[3:4], 2, v[3:4]
	v_ashrrev_i32_e32 v28, 31, v27
	v_add_co_ci_u32_e32 v1, vcc_lo, s19, v1, vcc_lo
	v_add_nc_u32_e32 v31, 0xdc0, v2
	v_add_co_u32 v23, vcc_lo, s18, v23
	v_lshlrev_b64 v[25:26], 2, v[25:26]
	v_ashrrev_i32_e32 v30, 31, v29
	v_add_co_ci_u32_e32 v24, vcc_lo, s19, v24, vcc_lo
	v_add_co_u32 v3, vcc_lo, s18, v3
	v_lshlrev_b64 v[27:28], 2, v[27:28]
	v_ashrrev_i32_e32 v32, 31, v31
	v_add_co_ci_u32_e32 v4, vcc_lo, s19, v4, vcc_lo
	v_add_co_u32 v25, vcc_lo, s18, v25
	v_lshlrev_b64 v[29:30], 2, v[29:30]
	v_add_co_ci_u32_e32 v26, vcc_lo, s19, v26, vcc_lo
	v_add_nc_u32_e32 v33, 0xe00, v2
	v_add_co_u32 v27, vcc_lo, s18, v27
	v_lshlrev_b64 v[31:32], 2, v[31:32]
	v_add_co_ci_u32_e32 v28, vcc_lo, s19, v28, vcc_lo
	v_add_nc_u32_e32 v35, 0xe40, v2
	v_add_co_u32 v29, vcc_lo, s18, v29
	v_ashrrev_i32_e32 v34, 31, v33
	v_add_co_ci_u32_e32 v30, vcc_lo, s19, v30, vcc_lo
	v_add_nc_u32_e32 v37, 0xe80, v2
	v_add_co_u32 v31, vcc_lo, s18, v31
	v_ashrrev_i32_e32 v36, 31, v35
	v_add_co_ci_u32_e32 v32, vcc_lo, s19, v32, vcc_lo
	s_clause 0x7
	global_store_b32 v[5:6], v22, off
	global_store_b32 v[0:1], v21, off
	global_store_b32 v[23:24], v20, off
	global_store_b32 v[3:4], v19, off
	global_store_b32 v[25:26], v18, off
	global_store_b32 v[27:28], v17, off
	global_store_b32 v[29:30], v16, off
	global_store_b32 v[31:32], v15, off
	v_add_nc_u32_e32 v3, 0xec0, v2
	v_lshlrev_b64 v[33:34], 2, v[33:34]
	v_ashrrev_i32_e32 v38, 31, v37
	v_add_nc_u32_e32 v17, 0xf00, v2
	v_lshlrev_b64 v[0:1], 2, v[35:36]
	v_ashrrev_i32_e32 v4, 31, v3
	v_add_nc_u32_e32 v19, 0xf40, v2
	v_add_co_u32 v5, vcc_lo, s18, v33
	v_lshlrev_b64 v[15:16], 2, v[37:38]
	v_ashrrev_i32_e32 v18, 31, v17
	v_add_co_ci_u32_e32 v6, vcc_lo, s19, v34, vcc_lo
	v_add_nc_u32_e32 v21, 0xf80, v2
	v_add_co_u32 v0, vcc_lo, s18, v0
	v_lshlrev_b64 v[3:4], 2, v[3:4]
	v_ashrrev_i32_e32 v20, 31, v19
	v_add_co_ci_u32_e32 v1, vcc_lo, s19, v1, vcc_lo
	v_add_nc_u32_e32 v23, 0xfc0, v2
	v_add_co_u32 v15, vcc_lo, s18, v15
	v_lshlrev_b64 v[17:18], 2, v[17:18]
	v_ashrrev_i32_e32 v22, 31, v21
	v_add_co_ci_u32_e32 v16, vcc_lo, s19, v16, vcc_lo
	v_add_co_u32 v3, vcc_lo, s18, v3
	v_lshlrev_b64 v[19:20], 2, v[19:20]
	v_ashrrev_i32_e32 v24, 31, v23
	v_add_co_ci_u32_e32 v4, vcc_lo, s19, v4, vcc_lo
	v_add_co_u32 v17, vcc_lo, s18, v17
	v_lshlrev_b64 v[21:22], 2, v[21:22]
	v_add_co_ci_u32_e32 v18, vcc_lo, s19, v18, vcc_lo
	v_add_co_u32 v19, vcc_lo, s18, v19
	v_lshlrev_b64 v[23:24], 2, v[23:24]
	v_add_co_ci_u32_e32 v20, vcc_lo, s19, v20, vcc_lo
	v_add_co_u32 v21, vcc_lo, s18, v21
	v_add_co_ci_u32_e32 v22, vcc_lo, s19, v22, vcc_lo
	s_delay_alu instid0(VALU_DEP_4)
	v_add_co_u32 v23, vcc_lo, s18, v23
	v_add_co_ci_u32_e32 v24, vcc_lo, s19, v24, vcc_lo
	s_clause 0x7
	global_store_b32 v[5:6], v14, off
	global_store_b32 v[0:1], v13, off
	;; [unrolled: 1-line block ×8, first 2 shown]
	s_nop 0
	s_sendmsg sendmsg(MSG_DEALLOC_VGPRS)
	s_endpgm
	.section	.rodata,"a",@progbits
	.p2align	6, 0x0
	.amdhsa_kernel _ZL21gated_linear_attn_f32ILi64EEviiiifPKfS1_S1_S1_S1_Pf
		.amdhsa_group_segment_fixed_size 768
		.amdhsa_private_segment_fixed_size 0
		.amdhsa_kernarg_size 72
		.amdhsa_user_sgpr_count 15
		.amdhsa_user_sgpr_dispatch_ptr 0
		.amdhsa_user_sgpr_queue_ptr 0
		.amdhsa_user_sgpr_kernarg_segment_ptr 1
		.amdhsa_user_sgpr_dispatch_id 0
		.amdhsa_user_sgpr_private_segment_size 0
		.amdhsa_wavefront_size32 1
		.amdhsa_uses_dynamic_stack 0
		.amdhsa_enable_private_segment 0
		.amdhsa_system_sgpr_workgroup_id_x 1
		.amdhsa_system_sgpr_workgroup_id_y 0
		.amdhsa_system_sgpr_workgroup_id_z 0
		.amdhsa_system_sgpr_workgroup_info 0
		.amdhsa_system_vgpr_workitem_id 0
		.amdhsa_next_free_vgpr 91
		.amdhsa_next_free_sgpr 24
		.amdhsa_reserve_vcc 1
		.amdhsa_float_round_mode_32 0
		.amdhsa_float_round_mode_16_64 0
		.amdhsa_float_denorm_mode_32 3
		.amdhsa_float_denorm_mode_16_64 3
		.amdhsa_dx10_clamp 1
		.amdhsa_ieee_mode 1
		.amdhsa_fp16_overflow 0
		.amdhsa_workgroup_processor_mode 1
		.amdhsa_memory_ordered 1
		.amdhsa_forward_progress 0
		.amdhsa_shared_vgpr_count 0
		.amdhsa_exception_fp_ieee_invalid_op 0
		.amdhsa_exception_fp_denorm_src 0
		.amdhsa_exception_fp_ieee_div_zero 0
		.amdhsa_exception_fp_ieee_overflow 0
		.amdhsa_exception_fp_ieee_underflow 0
		.amdhsa_exception_fp_ieee_inexact 0
		.amdhsa_exception_int_div_zero 0
	.end_amdhsa_kernel
	.section	.text._ZL21gated_linear_attn_f32ILi64EEviiiifPKfS1_S1_S1_S1_Pf,"axG",@progbits,_ZL21gated_linear_attn_f32ILi64EEviiiifPKfS1_S1_S1_S1_Pf,comdat
.Lfunc_end0:
	.size	_ZL21gated_linear_attn_f32ILi64EEviiiifPKfS1_S1_S1_S1_Pf, .Lfunc_end0-_ZL21gated_linear_attn_f32ILi64EEviiiifPKfS1_S1_S1_S1_Pf
                                        ; -- End function
	.section	.AMDGPU.csdata,"",@progbits
; Kernel info:
; codeLenInByte = 6372
; NumSgprs: 26
; NumVgprs: 91
; ScratchSize: 0
; MemoryBound: 0
; FloatMode: 240
; IeeeMode: 1
; LDSByteSize: 768 bytes/workgroup (compile time only)
; SGPRBlocks: 3
; VGPRBlocks: 11
; NumSGPRsForWavesPerEU: 26
; NumVGPRsForWavesPerEU: 91
; Occupancy: 16
; WaveLimiterHint : 1
; COMPUTE_PGM_RSRC2:SCRATCH_EN: 0
; COMPUTE_PGM_RSRC2:USER_SGPR: 15
; COMPUTE_PGM_RSRC2:TRAP_HANDLER: 0
; COMPUTE_PGM_RSRC2:TGID_X_EN: 1
; COMPUTE_PGM_RSRC2:TGID_Y_EN: 0
; COMPUTE_PGM_RSRC2:TGID_Z_EN: 0
; COMPUTE_PGM_RSRC2:TIDIG_COMP_CNT: 0
	.section	.text._ZL21gated_linear_attn_f32ILi128EEviiiifPKfS1_S1_S1_S1_Pf,"axG",@progbits,_ZL21gated_linear_attn_f32ILi128EEviiiifPKfS1_S1_S1_S1_Pf,comdat
	.globl	_ZL21gated_linear_attn_f32ILi128EEviiiifPKfS1_S1_S1_S1_Pf ; -- Begin function _ZL21gated_linear_attn_f32ILi128EEviiiifPKfS1_S1_S1_S1_Pf
	.p2align	8
	.type	_ZL21gated_linear_attn_f32ILi128EEviiiifPKfS1_S1_S1_S1_Pf,@function
_ZL21gated_linear_attn_f32ILi128EEviiiifPKfS1_S1_S1_S1_Pf: ; @_ZL21gated_linear_attn_f32ILi128EEviiiifPKfS1_S1_S1_S1_Pf
; %bb.0:
	s_clause 0x1
	s_load_b128 s[20:23], s[0:1], 0x0
	s_load_b128 s[16:19], s[0:1], 0x38
	s_abs_i32 s3, s15
	s_mov_b32 s12, 0
	s_mov_b32 s13, exec_lo
	s_waitcnt lgkmcnt(0)
	s_abs_i32 s4, s23
	s_xor_b32 s2, s15, s23
	v_cvt_f32_u32_e32 v1, s4
	s_sub_i32 s5, 0, s4
	s_ashr_i32 s2, s2, 31
	s_delay_alu instid0(VALU_DEP_1) | instskip(SKIP_2) | instid1(VALU_DEP_1)
	v_rcp_iflag_f32_e32 v1, v1
	s_waitcnt_depctr 0xfff
	v_mul_f32_e32 v1, 0x4f7ffffe, v1
	v_cvt_u32_f32_e32 v1, v1
	s_delay_alu instid0(VALU_DEP_1) | instskip(NEXT) | instid1(VALU_DEP_1)
	v_readfirstlane_b32 s6, v1
	s_mul_i32 s5, s5, s6
	s_delay_alu instid0(SALU_CYCLE_1) | instskip(NEXT) | instid1(SALU_CYCLE_1)
	s_mul_hi_u32 s5, s6, s5
	s_add_i32 s6, s6, s5
	s_delay_alu instid0(SALU_CYCLE_1) | instskip(NEXT) | instid1(SALU_CYCLE_1)
	s_mul_hi_u32 s5, s3, s6
	s_mul_i32 s6, s5, s4
	s_delay_alu instid0(SALU_CYCLE_1)
	s_sub_i32 s3, s3, s6
	s_add_i32 s6, s5, 1
	s_sub_i32 s7, s3, s4
	s_cmp_ge_u32 s3, s4
	s_cselect_b32 s5, s6, s5
	s_cselect_b32 s3, s7, s3
	s_add_i32 s6, s5, 1
	s_cmp_ge_u32 s3, s4
	s_cselect_b32 s3, s6, s5
	s_abs_i32 s6, s20
	s_xor_b32 s3, s3, s2
	s_sub_i32 s7, 0, s6
	s_sub_i32 s2, s3, s2
	s_delay_alu instid0(SALU_CYCLE_1)
	s_mul_i32 s3, s2, s23
	s_mul_i32 s4, s22, s2
	s_sub_i32 s3, s15, s3
	s_lshl_b32 s4, s4, 7
	s_lshl_b32 s5, s3, 14
	v_lshl_add_u32 v6, s3, 7, v0
	v_add3_u32 v1, s5, s4, v0
	s_abs_i32 s5, s21
	s_xor_b32 s4, s21, s20
	s_delay_alu instid0(SALU_CYCLE_1) | instskip(NEXT) | instid1(VALU_DEP_1)
	s_ashr_i32 s4, s4, 31
	v_ashrrev_i32_e32 v2, 31, v1
	s_delay_alu instid0(VALU_DEP_1) | instskip(NEXT) | instid1(VALU_DEP_1)
	v_lshlrev_b64 v[2:3], 2, v[1:2]
	v_add_co_u32 v2, vcc_lo, s16, v2
	s_delay_alu instid0(VALU_DEP_2)
	v_add_co_ci_u32_e32 v3, vcc_lo, s17, v3, vcc_lo
	s_clause 0x7
	global_load_b32 v17, v[2:3], off
	global_load_b32 v16, v[2:3], off offset:512
	global_load_b32 v15, v[2:3], off offset:1024
	;; [unrolled: 1-line block ×7, first 2 shown]
	v_add_nc_u32_e32 v2, 0x400, v1
	s_delay_alu instid0(VALU_DEP_1) | instskip(NEXT) | instid1(VALU_DEP_1)
	v_ashrrev_i32_e32 v3, 31, v2
	v_lshlrev_b64 v[2:3], 2, v[2:3]
	s_delay_alu instid0(VALU_DEP_1) | instskip(NEXT) | instid1(VALU_DEP_2)
	v_add_co_u32 v2, vcc_lo, s16, v2
	v_add_co_ci_u32_e32 v3, vcc_lo, s17, v3, vcc_lo
	global_load_b32 v7, v[2:3], off
	v_add_nc_u32_e32 v2, 0x480, v1
	s_delay_alu instid0(VALU_DEP_1) | instskip(NEXT) | instid1(VALU_DEP_1)
	v_ashrrev_i32_e32 v3, 31, v2
	v_lshlrev_b64 v[2:3], 2, v[2:3]
	s_delay_alu instid0(VALU_DEP_1) | instskip(NEXT) | instid1(VALU_DEP_2)
	v_add_co_u32 v2, vcc_lo, s16, v2
	v_add_co_ci_u32_e32 v3, vcc_lo, s17, v3, vcc_lo
	global_load_b32 v8, v[2:3], off
	;; [unrolled: 8-line block ×120, first 2 shown]
	v_cvt_f32_u32_e32 v2, s6
	s_delay_alu instid0(VALU_DEP_1) | instskip(SKIP_2) | instid1(VALU_DEP_1)
	v_rcp_iflag_f32_e32 v2, v2
	s_waitcnt_depctr 0xfff
	v_mul_f32_e32 v2, 0x4f7ffffe, v2
	v_cvt_u32_f32_e32 v2, v2
	s_delay_alu instid0(VALU_DEP_1) | instskip(NEXT) | instid1(VALU_DEP_1)
	v_readfirstlane_b32 s8, v2
	s_mul_i32 s7, s7, s8
	s_delay_alu instid0(SALU_CYCLE_1) | instskip(NEXT) | instid1(SALU_CYCLE_1)
	s_mul_hi_u32 s7, s8, s7
	s_add_i32 s8, s8, s7
	s_delay_alu instid0(SALU_CYCLE_1) | instskip(NEXT) | instid1(SALU_CYCLE_1)
	s_mul_hi_u32 s7, s5, s8
	s_mul_i32 s8, s7, s6
	s_delay_alu instid0(SALU_CYCLE_1)
	s_sub_i32 s5, s5, s8
	s_add_i32 s8, s7, 1
	s_sub_i32 s9, s5, s6
	s_cmp_ge_u32 s5, s6
	s_cselect_b32 s7, s8, s7
	s_cselect_b32 s5, s9, s5
	s_add_i32 s8, s7, 1
	s_cmp_ge_u32 s5, s6
	s_cselect_b32 s5, s8, s7
	s_delay_alu instid0(SALU_CYCLE_1) | instskip(NEXT) | instid1(SALU_CYCLE_1)
	s_xor_b32 s5, s5, s4
	s_sub_i32 s4, s5, s4
	s_delay_alu instid0(SALU_CYCLE_1) | instskip(SKIP_3) | instid1(SALU_CYCLE_1)
	s_mul_i32 s4, s4, s22
	s_waitcnt vmcnt(62)
	v_mad_u64_u32 v[2:3], null, s4, s2, v[6:7]
	s_add_i32 s2, s2, 1
	v_mad_u64_u32 v[4:5], null, s4, s2, v[6:7]
	s_delay_alu instid0(VALU_DEP_1)
	v_cmpx_lt_i32_e64 v2, v4
	s_cbranch_execz .LBB1_4
; %bb.1:
	s_clause 0x1
	s_load_b32 s14, s[0:1], 0x10
	s_load_b256 s[4:11], s[0:1], 0x18
	v_ashrrev_i32_e32 v3, 31, v2
	v_lshlrev_b32_e32 v0, 2, v0
	s_ashr_i32 s23, s22, 31
	s_delay_alu instid0(SALU_CYCLE_1) | instskip(NEXT) | instid1(VALU_DEP_2)
	s_lshl_b64 s[2:3], s[22:23], 2
	v_lshlrev_b64 v[5:6], 2, v[2:3]
	v_mov_b32_e32 v3, 0
	v_add_nc_u32_e32 v135, 0x200, v0
	v_add_nc_u32_e32 v136, 0x400, v0
.LBB1_2:                                ; =>This Inner Loop Header: Depth=1
	s_waitcnt lgkmcnt(0)
	s_delay_alu instid0(VALU_DEP_4)
	v_add_co_u32 v137, vcc_lo, s4, v5
	v_add_co_ci_u32_e32 v138, vcc_lo, s5, v6, vcc_lo
	v_add_co_u32 v139, vcc_lo, s8, v5
	v_add_co_ci_u32_e32 v140, vcc_lo, s9, v6, vcc_lo
	;; [unrolled: 2-line block ×3, first 2 shown]
	s_waitcnt vmcnt(0)
	s_waitcnt_vscnt null, 0x0
	s_barrier
	buffer_gl0_inv
	global_load_b32 v143, v[137:138], off
	global_load_b32 v139, v[139:140], off
	;; [unrolled: 1-line block ×3, first 2 shown]
	v_add_co_u32 v137, vcc_lo, s6, v5
	v_add_co_ci_u32_e32 v138, vcc_lo, s7, v6, vcc_lo
	v_add_nc_u32_e32 v2, s22, v2
	s_waitcnt vmcnt(2)
	ds_store_b32 v0, v143
	s_waitcnt vmcnt(1)
	ds_store_b32 v135, v139
	;; [unrolled: 2-line block ×3, first 2 shown]
	s_waitcnt lgkmcnt(0)
	s_barrier
	buffer_gl0_inv
	global_load_b32 v137, v[137:138], off
	ds_load_b128 v[138:141], v3 offset:1024
	ds_load_b128 v[142:145], v3
	ds_load_b128 v[146:149], v3 offset:512
	ds_load_b128 v[150:153], v3 offset:1040
	ds_load_b128 v[154:157], v3 offset:16
	ds_load_b128 v[158:161], v3 offset:528
	v_cmp_ge_i32_e64 s0, v2, v4
	s_delay_alu instid0(VALU_DEP_1) | instskip(SKIP_4) | instid1(VALU_DEP_2)
	s_or_b32 s12, s0, s12
	s_waitcnt lgkmcnt(5)
	v_dual_mul_f32 v17, v17, v138 :: v_dual_mul_f32 v16, v16, v139
	v_dual_mul_f32 v15, v15, v140 :: v_dual_mul_f32 v14, v14, v141
	s_waitcnt vmcnt(0) lgkmcnt(2)
	v_dual_mul_f32 v11, v11, v152 :: v_dual_fmac_f32 v16, v137, v143
	s_delay_alu instid0(VALU_DEP_3)
	v_fmac_f32_e32 v17, v137, v142
	ds_load_b128 v[139:142], v3 offset:1056
	v_fmac_f32_e32 v14, v137, v145
	v_fma_f32 v138, v17, v146, 0
	v_fmac_f32_e32 v15, v137, v144
	ds_load_b128 v[143:146], v3 offset:32
	s_waitcnt lgkmcnt(3)
	v_dual_fmac_f32 v11, v137, v156 :: v_dual_fmac_f32 v138, v16, v147
	s_delay_alu instid0(VALU_DEP_1) | instskip(NEXT) | instid1(VALU_DEP_1)
	v_dual_mul_f32 v13, v13, v150 :: v_dual_fmac_f32 v138, v15, v148
	v_dual_mul_f32 v12, v12, v151 :: v_dual_fmac_f32 v13, v137, v154
	s_delay_alu instid0(VALU_DEP_2) | instskip(SKIP_1) | instid1(VALU_DEP_2)
	v_fmac_f32_e32 v138, v14, v149
	s_waitcnt lgkmcnt(1)
	v_dual_fmac_f32 v12, v137, v155 :: v_dual_mul_f32 v19, v19, v142
	v_dual_mul_f32 v7, v7, v139 :: v_dual_mul_f32 v10, v10, v153
	s_delay_alu instid0(VALU_DEP_3)
	v_fmac_f32_e32 v138, v13, v158
	ds_load_b128 v[151:154], v3 offset:1072
	v_dual_mul_f32 v8, v8, v140 :: v_dual_mul_f32 v9, v9, v141
	ds_load_b128 v[139:142], v3 offset:1088
	v_fmac_f32_e32 v138, v12, v159
	s_waitcnt lgkmcnt(2)
	v_fmac_f32_e32 v7, v137, v143
	v_fmac_f32_e32 v10, v137, v157
	ds_load_b128 v[155:158], v3 offset:48
	v_dual_fmac_f32 v9, v137, v145 :: v_dual_fmac_f32 v138, v11, v160
	v_fmac_f32_e32 v19, v137, v146
	ds_load_b128 v[147:150], v3 offset:544
	s_waitcnt lgkmcnt(3)
	v_mul_f32_e32 v21, v21, v151
	v_dual_mul_f32 v23, v23, v152 :: v_dual_fmac_f32 v138, v10, v161
	ds_load_b128 v[159:162], v3 offset:560
	v_dual_mul_f32 v24, v24, v153 :: v_dual_mul_f32 v25, v25, v154
	ds_load_b128 v[151:154], v3 offset:1104
	s_waitcnt lgkmcnt(4)
	v_mul_f32_e32 v18, v18, v139
	v_mul_f32_e32 v20, v20, v140
	;; [unrolled: 1-line block ×4, first 2 shown]
	ds_load_b128 v[139:142], v3 offset:1120
	v_fmac_f32_e32 v8, v137, v144
	ds_load_b128 v[143:146], v3 offset:64
	s_waitcnt lgkmcnt(5)
	v_fmac_f32_e32 v25, v137, v158
	v_fmac_f32_e32 v23, v137, v156
	;; [unrolled: 1-line block ×3, first 2 shown]
	s_waitcnt lgkmcnt(2)
	v_mul_f32_e32 v33, v33, v153
	s_waitcnt lgkmcnt(1)
	v_dual_mul_f32 v27, v27, v139 :: v_dual_mul_f32 v30, v30, v152
	s_waitcnt lgkmcnt(0)
	v_dual_fmac_f32 v18, v137, v143 :: v_dual_mul_f32 v31, v31, v141
	v_dual_mul_f32 v36, v36, v154 :: v_dual_mul_f32 v29, v29, v140
	v_mul_f32_e32 v28, v28, v151
	ds_load_b128 v[151:154], v3 offset:1136
	v_mul_f32_e32 v34, v34, v142
	ds_load_b128 v[139:142], v3 offset:1152
	v_fmac_f32_e32 v24, v137, v157
	ds_load_b128 v[155:158], v3 offset:80
	s_waitcnt lgkmcnt(2)
	v_dual_mul_f32 v37, v37, v151 :: v_dual_mul_f32 v42, v42, v152
	v_mul_f32_e32 v53, v53, v153
	s_waitcnt lgkmcnt(1)
	v_dual_mul_f32 v69, v69, v154 :: v_dual_mul_f32 v32, v32, v139
	ds_load_b128 v[151:154], v3 offset:1168
	v_dual_mul_f32 v35, v35, v140 :: v_dual_mul_f32 v38, v38, v141
	v_mul_f32_e32 v45, v45, v142
	ds_load_b128 v[139:142], v3 offset:1184
	v_fmac_f32_e32 v20, v137, v144
	v_fmac_f32_e32 v22, v137, v145
	s_waitcnt lgkmcnt(1)
	v_dual_mul_f32 v57, v57, v151 :: v_dual_mul_f32 v74, v74, v152
	v_dual_mul_f32 v107, v107, v154 :: v_dual_mul_f32 v90, v90, v153
	ds_load_b128 v[151:154], v3 offset:1200
	s_waitcnt lgkmcnt(1)
	v_dual_mul_f32 v40, v40, v139 :: v_dual_mul_f32 v49, v49, v140
	v_mul_f32_e32 v61, v61, v141
	v_mul_f32_e32 v79, v79, v142
	ds_load_b128 v[139:142], v3 offset:1216
	v_fmac_f32_e32 v26, v137, v146
	ds_load_b128 v[143:146], v3 offset:96
	v_fmac_f32_e32 v33, v137, v157
	s_waitcnt lgkmcnt(2)
	v_mul_f32_e32 v95, v95, v151
	v_mul_f32_e32 v113, v113, v152
	;; [unrolled: 1-line block ×4, first 2 shown]
	ds_load_b128 v[151:154], v3 offset:1232
	s_waitcnt lgkmcnt(2)
	v_mul_f32_e32 v66, v66, v139
	v_dual_mul_f32 v88, v88, v140 :: v_dual_mul_f32 v111, v111, v142
	s_waitcnt lgkmcnt(1)
	v_fmac_f32_e32 v27, v137, v143
	v_fmac_f32_e32 v30, v137, v156
	;; [unrolled: 1-line block ×4, first 2 shown]
	v_mul_f32_e32 v100, v100, v141
	ds_load_b128 v[139:142], v3 offset:1248
	v_fmac_f32_e32 v31, v137, v145
	v_fmac_f32_e32 v36, v137, v158
	ds_load_b128 v[155:158], v3 offset:112
	v_fmac_f32_e32 v34, v137, v146
	ds_load_b128 v[143:146], v3 offset:128
	s_waitcnt lgkmcnt(3)
	v_dual_mul_f32 v119, v119, v151 :: v_dual_mul_f32 v126, v126, v152
	v_dual_mul_f32 v130, v130, v153 :: v_dual_mul_f32 v133, v133, v154
	ds_load_b128 v[151:154], v3 offset:1264
	s_waitcnt lgkmcnt(3)
	v_dual_mul_f32 v71, v71, v139 :: v_dual_mul_f32 v82, v82, v140
	v_dual_mul_f32 v93, v93, v141 :: v_dual_mul_f32 v104, v104, v142
	ds_load_b128 v[139:142], v3 offset:1280
	s_waitcnt lgkmcnt(3)
	v_fmac_f32_e32 v37, v137, v155
	v_fmac_f32_e32 v42, v137, v156
	s_waitcnt lgkmcnt(2)
	v_fmac_f32_e32 v32, v137, v143
	v_fmac_f32_e32 v35, v137, v144
	;; [unrolled: 1-line block ×5, first 2 shown]
	ds_load_b128 v[143:146], v3 offset:160
	s_waitcnt lgkmcnt(2)
	v_dual_mul_f32 v115, v115, v151 :: v_dual_mul_f32 v122, v122, v152
	s_waitcnt lgkmcnt(1)
	v_dual_mul_f32 v132, v132, v154 :: v_dual_mul_f32 v85, v85, v141
	v_dual_mul_f32 v63, v63, v139 :: v_dual_mul_f32 v128, v128, v153
	ds_load_b128 v[151:154], v3 offset:1296
	v_mul_f32_e32 v75, v75, v140
	v_fmac_f32_e32 v53, v137, v157
	ds_load_b128 v[155:158], v3 offset:144
	v_mul_f32_e32 v97, v97, v142
	ds_load_b128 v[139:142], v3 offset:1312
	s_waitcnt lgkmcnt(3)
	v_fmac_f32_e32 v61, v137, v145
	v_fmac_f32_e32 v79, v137, v146
	s_waitcnt lgkmcnt(2)
	v_dual_fmac_f32 v49, v137, v144 :: v_dual_mul_f32 v108, v108, v151
	v_dual_mul_f32 v118, v118, v152 :: v_dual_mul_f32 v125, v125, v153
	s_waitcnt lgkmcnt(1)
	v_fmac_f32_e32 v74, v137, v156
	v_mul_f32_e32 v129, v129, v154
	ds_load_b128 v[151:154], v3 offset:1328
	s_waitcnt lgkmcnt(1)
	v_mul_f32_e32 v58, v58, v139
	v_dual_mul_f32 v80, v80, v141 :: v_dual_mul_f32 v91, v91, v142
	v_mul_f32_e32 v68, v68, v140
	ds_load_b128 v[139:142], v3 offset:1344
	v_fmac_f32_e32 v107, v137, v158
	s_waitcnt lgkmcnt(1)
	v_dual_fmac_f32 v90, v137, v157 :: v_dual_mul_f32 v127, v127, v154
	v_dual_mul_f32 v102, v102, v151 :: v_dual_mul_f32 v121, v121, v153
	v_mul_f32_e32 v114, v114, v152
	ds_load_b128 v[151:154], v3 offset:1360
	s_waitcnt lgkmcnt(1)
	v_dual_mul_f32 v52, v52, v139 :: v_dual_mul_f32 v73, v73, v141
	v_mul_f32_e32 v62, v62, v140
	v_mul_f32_e32 v84, v84, v142
	ds_load_b128 v[139:142], v3 offset:1376
	v_fmac_f32_e32 v57, v137, v155
	ds_load_b128 v[155:158], v3 offset:176
	v_fmac_f32_e32 v40, v137, v143
	ds_load_b128 v[143:146], v3 offset:192
	s_waitcnt lgkmcnt(3)
	v_dual_mul_f32 v117, v117, v153 :: v_dual_mul_f32 v96, v96, v151
	v_mul_f32_e32 v124, v124, v154
	s_waitcnt lgkmcnt(2)
	v_dual_mul_f32 v56, v56, v140 :: v_dual_mul_f32 v67, v67, v141
	v_mul_f32_e32 v106, v106, v152
	ds_load_b128 v[151:154], v3 offset:1392
	v_mul_f32_e32 v48, v48, v139
	v_mul_f32_e32 v78, v78, v142
	ds_load_b128 v[139:142], v3 offset:1408
	s_waitcnt lgkmcnt(2)
	v_fmac_f32_e32 v66, v137, v143
	v_fmac_f32_e32 v111, v137, v146
	s_waitcnt lgkmcnt(1)
	v_mul_f32_e32 v89, v89, v151
	v_dual_mul_f32 v101, v101, v152 :: v_dual_mul_f32 v120, v120, v154
	s_waitcnt lgkmcnt(0)
	v_dual_mul_f32 v51, v51, v140 :: v_dual_mul_f32 v112, v112, v153
	ds_load_b128 v[151:154], v3 offset:1424
	v_mul_f32_e32 v44, v44, v139
	v_mul_f32_e32 v60, v60, v141
	;; [unrolled: 1-line block ×3, first 2 shown]
	ds_load_b128 v[139:142], v3 offset:1440
	v_fmac_f32_e32 v88, v137, v144
	v_fmac_f32_e32 v113, v137, v156
	s_waitcnt lgkmcnt(1)
	v_mul_f32_e32 v83, v83, v151
	v_dual_mul_f32 v105, v105, v153 :: v_dual_mul_f32 v116, v116, v154
	v_fmac_f32_e32 v123, v137, v157
	s_waitcnt lgkmcnt(0)
	v_dual_mul_f32 v41, v41, v139 :: v_dual_mul_f32 v94, v94, v152
	ds_load_b128 v[151:154], v3 offset:1456
	v_mul_f32_e32 v46, v46, v140
	v_mul_f32_e32 v54, v54, v141
	;; [unrolled: 1-line block ×3, first 2 shown]
	ds_load_b128 v[139:142], v3 offset:1472
	v_fmac_f32_e32 v100, v137, v145
	ds_load_b128 v[143:146], v3 offset:224
	s_waitcnt lgkmcnt(2)
	v_mul_f32_e32 v86, v86, v152
	v_dual_mul_f32 v98, v98, v153 :: v_dual_mul_f32 v109, v109, v154
	s_waitcnt lgkmcnt(1)
	v_mul_f32_e32 v39, v39, v139
	v_fmac_f32_e32 v131, v137, v158
	v_fmac_f32_e32 v95, v137, v155
	ds_load_b128 v[155:158], v3 offset:208
	s_waitcnt lgkmcnt(1)
	v_fmac_f32_e32 v71, v137, v143
	v_fmac_f32_e32 v93, v137, v145
	v_dual_fmac_f32 v104, v137, v146 :: v_dual_mul_f32 v43, v43, v140
	v_dual_mul_f32 v59, v59, v142 :: v_dual_mul_f32 v76, v76, v151
	ds_load_b128 v[151:154], v3 offset:1488
	v_fmac_f32_e32 v82, v137, v144
	ds_load_b128 v[143:146], v3 offset:256
	s_waitcnt lgkmcnt(2)
	v_fmac_f32_e32 v119, v137, v155
	v_fmac_f32_e32 v126, v137, v156
	;; [unrolled: 1-line block ×4, first 2 shown]
	ds_load_b128 v[155:158], v3 offset:240
	s_waitcnt lgkmcnt(2)
	v_dual_mul_f32 v81, v81, v152 :: v_dual_mul_f32 v70, v70, v151
	s_waitcnt lgkmcnt(1)
	v_fmac_f32_e32 v63, v137, v143
	v_fmac_f32_e32 v75, v137, v144
	v_fmac_f32_e32 v85, v137, v145
	v_fmac_f32_e32 v97, v137, v146
	ds_load_b128 v[143:146], v3 offset:288
	v_dual_mul_f32 v92, v92, v153 :: v_dual_mul_f32 v103, v103, v154
	ds_load_b128 v[151:154], v3 offset:1520
	s_waitcnt lgkmcnt(2)
	v_fmac_f32_e32 v115, v137, v155
	v_fmac_f32_e32 v122, v137, v156
	;; [unrolled: 1-line block ×4, first 2 shown]
	ds_load_b128 v[155:158], v3 offset:272
	s_waitcnt lgkmcnt(2)
	v_fmac_f32_e32 v80, v137, v145
	v_fmac_f32_e32 v91, v137, v146
	;; [unrolled: 1-line block ×3, first 2 shown]
	s_waitcnt lgkmcnt(1)
	v_mul_f32_e32 v110, v110, v153
	v_dual_mul_f32 v134, v134, v154 :: v_dual_mul_f32 v99, v99, v152
	v_mul_f32_e32 v87, v87, v151
	s_waitcnt lgkmcnt(0)
	v_fmac_f32_e32 v108, v137, v155
	v_fmac_f32_e32 v118, v137, v156
	;; [unrolled: 1-line block ×5, first 2 shown]
	ds_load_b128 v[155:158], v3 offset:304
	ds_load_b128 v[143:146], v3 offset:320
	s_waitcnt lgkmcnt(1)
	v_fmac_f32_e32 v102, v137, v155
	v_fmac_f32_e32 v121, v137, v157
	;; [unrolled: 1-line block ×4, first 2 shown]
	ds_load_b128 v[155:158], v3 offset:336
	s_waitcnt lgkmcnt(1)
	v_fmac_f32_e32 v52, v137, v143
	v_fmac_f32_e32 v73, v137, v145
	v_fmac_f32_e32 v62, v137, v144
	v_fmac_f32_e32 v84, v137, v146
	ds_load_b128 v[143:146], v3 offset:352
	s_waitcnt lgkmcnt(1)
	v_fmac_f32_e32 v117, v137, v157
	v_fmac_f32_e32 v96, v137, v155
	v_fmac_f32_e32 v124, v137, v158
	s_waitcnt lgkmcnt(0)
	v_fmac_f32_e32 v48, v137, v143
	v_fmac_f32_e32 v56, v137, v144
	;; [unrolled: 1-line block ×4, first 2 shown]
	ds_load_b128 v[155:158], v3 offset:368
	v_fmac_f32_e32 v78, v137, v146
	ds_load_b128 v[143:146], v3 offset:384
	s_waitcnt lgkmcnt(1)
	v_fmac_f32_e32 v89, v137, v155
	v_fmac_f32_e32 v101, v137, v156
	;; [unrolled: 1-line block ×3, first 2 shown]
	s_waitcnt lgkmcnt(0)
	v_fmac_f32_e32 v44, v137, v143
	v_fmac_f32_e32 v51, v137, v144
	;; [unrolled: 1-line block ×3, first 2 shown]
	ds_load_b128 v[155:158], v3 offset:400
	v_fmac_f32_e32 v60, v137, v145
	v_fmac_f32_e32 v72, v137, v146
	ds_load_b128 v[143:146], v3 offset:416
	s_waitcnt lgkmcnt(1)
	v_fmac_f32_e32 v83, v137, v155
	v_fmac_f32_e32 v105, v137, v157
	;; [unrolled: 1-line block ×3, first 2 shown]
	s_waitcnt lgkmcnt(0)
	v_fmac_f32_e32 v41, v137, v143
	v_fmac_f32_e32 v94, v137, v156
	ds_load_b128 v[155:158], v3 offset:432
	v_fmac_f32_e32 v46, v137, v144
	v_fmac_f32_e32 v54, v137, v145
	;; [unrolled: 1-line block ×3, first 2 shown]
	ds_load_b128 v[143:146], v3 offset:448
	s_waitcnt lgkmcnt(1)
	v_fmac_f32_e32 v86, v137, v156
	v_fmac_f32_e32 v98, v137, v157
	;; [unrolled: 1-line block ×3, first 2 shown]
	s_waitcnt lgkmcnt(0)
	v_fmac_f32_e32 v59, v137, v146
	v_fmac_f32_e32 v76, v137, v155
	ds_load_b128 v[155:158], v3 offset:464
	v_dual_mul_f32 v50, v50, v141 :: v_dual_fmac_f32 v39, v137, v143
	v_fmac_f32_e32 v43, v137, v144
	ds_load_b128 v[139:142], v3 offset:1504
	v_fmac_f32_e32 v50, v137, v145
	ds_load_b128 v[143:146], v3 offset:480
	s_waitcnt lgkmcnt(2)
	v_fmac_f32_e32 v70, v137, v155
	v_fmac_f32_e32 v81, v137, v156
	;; [unrolled: 1-line block ×4, first 2 shown]
	ds_load_b128 v[155:158], v3 offset:496
	v_fmac_f32_e32 v138, v7, v147
	s_delay_alu instid0(VALU_DEP_1) | instskip(NEXT) | instid1(VALU_DEP_1)
	v_fmac_f32_e32 v138, v8, v148
	v_fmac_f32_e32 v138, v9, v149
	s_delay_alu instid0(VALU_DEP_1)
	v_fmac_f32_e32 v138, v19, v150
	ds_load_b128 v[147:150], v3 offset:576
	s_waitcnt lgkmcnt(1)
	v_fmac_f32_e32 v99, v137, v156
	v_fmac_f32_e32 v138, v21, v159
	;; [unrolled: 1-line block ×5, first 2 shown]
	s_delay_alu instid0(VALU_DEP_4) | instskip(NEXT) | instid1(VALU_DEP_1)
	v_fmac_f32_e32 v138, v23, v160
	v_fmac_f32_e32 v138, v24, v161
	s_delay_alu instid0(VALU_DEP_1) | instskip(SKIP_3) | instid1(VALU_DEP_1)
	v_fmac_f32_e32 v138, v25, v162
	ds_load_b128 v[159:162], v3 offset:592
	s_waitcnt lgkmcnt(1)
	v_fmac_f32_e32 v138, v18, v147
	v_fmac_f32_e32 v138, v20, v148
	s_delay_alu instid0(VALU_DEP_1) | instskip(NEXT) | instid1(VALU_DEP_1)
	v_fmac_f32_e32 v138, v22, v149
	v_fmac_f32_e32 v138, v26, v150
	ds_load_b128 v[147:150], v3 offset:608
	s_waitcnt lgkmcnt(1)
	v_fmac_f32_e32 v138, v28, v159
	s_delay_alu instid0(VALU_DEP_1) | instskip(NEXT) | instid1(VALU_DEP_1)
	v_fmac_f32_e32 v138, v30, v160
	v_fmac_f32_e32 v138, v33, v161
	s_delay_alu instid0(VALU_DEP_1) | instskip(SKIP_3) | instid1(VALU_DEP_1)
	v_fmac_f32_e32 v138, v36, v162
	ds_load_b128 v[159:162], v3 offset:624
	s_waitcnt lgkmcnt(1)
	v_fmac_f32_e32 v138, v27, v147
	v_fmac_f32_e32 v138, v29, v148
	s_delay_alu instid0(VALU_DEP_1) | instskip(NEXT) | instid1(VALU_DEP_1)
	v_fmac_f32_e32 v138, v31, v149
	v_fmac_f32_e32 v138, v34, v150
	ds_load_b128 v[147:150], v3 offset:640
	s_waitcnt lgkmcnt(1)
	v_fmac_f32_e32 v138, v37, v159
	s_delay_alu instid0(VALU_DEP_1) | instskip(NEXT) | instid1(VALU_DEP_1)
	v_fmac_f32_e32 v138, v42, v160
	v_fmac_f32_e32 v138, v53, v161
	s_delay_alu instid0(VALU_DEP_1) | instskip(SKIP_3) | instid1(VALU_DEP_1)
	v_fmac_f32_e32 v138, v69, v162
	ds_load_b128 v[159:162], v3 offset:656
	s_waitcnt lgkmcnt(1)
	v_fmac_f32_e32 v138, v32, v147
	v_fmac_f32_e32 v138, v35, v148
	s_delay_alu instid0(VALU_DEP_1) | instskip(NEXT) | instid1(VALU_DEP_1)
	v_fmac_f32_e32 v138, v38, v149
	v_fmac_f32_e32 v138, v45, v150
	ds_load_b128 v[147:150], v3 offset:672
	s_waitcnt lgkmcnt(1)
	v_fmac_f32_e32 v138, v57, v159
	s_delay_alu instid0(VALU_DEP_1) | instskip(NEXT) | instid1(VALU_DEP_1)
	v_fmac_f32_e32 v138, v74, v160
	v_fmac_f32_e32 v138, v90, v161
	s_delay_alu instid0(VALU_DEP_1) | instskip(SKIP_3) | instid1(VALU_DEP_1)
	v_fmac_f32_e32 v138, v107, v162
	ds_load_b128 v[159:162], v3 offset:688
	s_waitcnt lgkmcnt(1)
	v_fmac_f32_e32 v138, v40, v147
	v_fmac_f32_e32 v138, v49, v148
	s_delay_alu instid0(VALU_DEP_1) | instskip(NEXT) | instid1(VALU_DEP_1)
	v_fmac_f32_e32 v138, v61, v149
	v_fmac_f32_e32 v138, v79, v150
	ds_load_b128 v[147:150], v3 offset:704
	s_waitcnt lgkmcnt(1)
	v_fmac_f32_e32 v138, v95, v159
	s_delay_alu instid0(VALU_DEP_1) | instskip(NEXT) | instid1(VALU_DEP_1)
	v_fmac_f32_e32 v138, v113, v160
	v_fmac_f32_e32 v138, v123, v161
	s_delay_alu instid0(VALU_DEP_1) | instskip(SKIP_3) | instid1(VALU_DEP_1)
	v_fmac_f32_e32 v138, v131, v162
	ds_load_b128 v[159:162], v3 offset:720
	s_waitcnt lgkmcnt(1)
	v_fmac_f32_e32 v138, v66, v147
	v_fmac_f32_e32 v138, v88, v148
	s_delay_alu instid0(VALU_DEP_1) | instskip(NEXT) | instid1(VALU_DEP_1)
	v_fmac_f32_e32 v138, v100, v149
	v_fmac_f32_e32 v138, v111, v150
	ds_load_b128 v[147:150], v3 offset:736
	s_waitcnt lgkmcnt(1)
	v_fmac_f32_e32 v138, v119, v159
	s_delay_alu instid0(VALU_DEP_1) | instskip(NEXT) | instid1(VALU_DEP_1)
	v_fmac_f32_e32 v138, v126, v160
	v_fmac_f32_e32 v138, v130, v161
	s_delay_alu instid0(VALU_DEP_1) | instskip(SKIP_3) | instid1(VALU_DEP_1)
	v_fmac_f32_e32 v138, v133, v162
	ds_load_b128 v[159:162], v3 offset:752
	s_waitcnt lgkmcnt(1)
	v_fmac_f32_e32 v138, v71, v147
	v_fmac_f32_e32 v138, v82, v148
	s_delay_alu instid0(VALU_DEP_1) | instskip(NEXT) | instid1(VALU_DEP_1)
	v_fmac_f32_e32 v138, v93, v149
	v_fmac_f32_e32 v138, v104, v150
	ds_load_b128 v[147:150], v3 offset:768
	s_waitcnt lgkmcnt(1)
	v_fmac_f32_e32 v138, v115, v159
	s_delay_alu instid0(VALU_DEP_1) | instskip(NEXT) | instid1(VALU_DEP_1)
	v_fmac_f32_e32 v138, v122, v160
	v_fmac_f32_e32 v138, v128, v161
	s_delay_alu instid0(VALU_DEP_1) | instskip(SKIP_3) | instid1(VALU_DEP_1)
	v_fmac_f32_e32 v138, v132, v162
	ds_load_b128 v[159:162], v3 offset:784
	s_waitcnt lgkmcnt(1)
	v_fmac_f32_e32 v138, v63, v147
	v_fmac_f32_e32 v138, v75, v148
	s_delay_alu instid0(VALU_DEP_1) | instskip(NEXT) | instid1(VALU_DEP_1)
	v_fmac_f32_e32 v138, v85, v149
	v_fmac_f32_e32 v138, v97, v150
	ds_load_b128 v[147:150], v3 offset:800
	s_waitcnt lgkmcnt(1)
	v_fmac_f32_e32 v138, v108, v159
	s_delay_alu instid0(VALU_DEP_1) | instskip(NEXT) | instid1(VALU_DEP_1)
	v_fmac_f32_e32 v138, v118, v160
	v_fmac_f32_e32 v138, v125, v161
	s_delay_alu instid0(VALU_DEP_1) | instskip(SKIP_3) | instid1(VALU_DEP_1)
	v_fmac_f32_e32 v138, v129, v162
	ds_load_b128 v[159:162], v3 offset:816
	s_waitcnt lgkmcnt(1)
	v_fmac_f32_e32 v138, v58, v147
	v_fmac_f32_e32 v138, v68, v148
	s_delay_alu instid0(VALU_DEP_1) | instskip(NEXT) | instid1(VALU_DEP_1)
	v_fmac_f32_e32 v138, v80, v149
	v_fmac_f32_e32 v138, v91, v150
	ds_load_b128 v[147:150], v3 offset:832
	s_waitcnt lgkmcnt(1)
	v_fmac_f32_e32 v138, v102, v159
	s_delay_alu instid0(VALU_DEP_1) | instskip(NEXT) | instid1(VALU_DEP_1)
	v_fmac_f32_e32 v138, v114, v160
	v_fmac_f32_e32 v138, v121, v161
	s_delay_alu instid0(VALU_DEP_1) | instskip(SKIP_3) | instid1(VALU_DEP_1)
	v_fmac_f32_e32 v138, v127, v162
	ds_load_b128 v[159:162], v3 offset:848
	s_waitcnt lgkmcnt(1)
	v_fmac_f32_e32 v138, v52, v147
	v_fmac_f32_e32 v138, v62, v148
	s_delay_alu instid0(VALU_DEP_1) | instskip(NEXT) | instid1(VALU_DEP_1)
	v_fmac_f32_e32 v138, v73, v149
	v_fmac_f32_e32 v138, v84, v150
	ds_load_b128 v[147:150], v3 offset:864
	s_waitcnt lgkmcnt(1)
	v_fmac_f32_e32 v138, v96, v159
	s_delay_alu instid0(VALU_DEP_1) | instskip(NEXT) | instid1(VALU_DEP_1)
	v_fmac_f32_e32 v138, v106, v160
	v_fmac_f32_e32 v138, v117, v161
	s_delay_alu instid0(VALU_DEP_1) | instskip(SKIP_3) | instid1(VALU_DEP_1)
	v_fmac_f32_e32 v138, v124, v162
	ds_load_b128 v[159:162], v3 offset:880
	s_waitcnt lgkmcnt(1)
	v_fmac_f32_e32 v138, v48, v147
	v_fmac_f32_e32 v138, v56, v148
	s_delay_alu instid0(VALU_DEP_1) | instskip(NEXT) | instid1(VALU_DEP_1)
	v_fmac_f32_e32 v138, v67, v149
	v_fmac_f32_e32 v138, v78, v150
	ds_load_b128 v[147:150], v3 offset:896
	s_waitcnt lgkmcnt(1)
	v_fmac_f32_e32 v138, v89, v159
	s_delay_alu instid0(VALU_DEP_1) | instskip(NEXT) | instid1(VALU_DEP_1)
	v_fmac_f32_e32 v138, v101, v160
	v_fmac_f32_e32 v138, v112, v161
	s_delay_alu instid0(VALU_DEP_1) | instskip(SKIP_3) | instid1(VALU_DEP_1)
	v_fmac_f32_e32 v138, v120, v162
	ds_load_b128 v[159:162], v3 offset:912
	s_waitcnt lgkmcnt(1)
	v_fmac_f32_e32 v138, v44, v147
	v_fmac_f32_e32 v138, v51, v148
	s_delay_alu instid0(VALU_DEP_1) | instskip(NEXT) | instid1(VALU_DEP_1)
	v_fmac_f32_e32 v138, v60, v149
	v_fmac_f32_e32 v138, v72, v150
	ds_load_b128 v[147:150], v3 offset:928
	s_waitcnt lgkmcnt(1)
	v_fmac_f32_e32 v138, v83, v159
	s_delay_alu instid0(VALU_DEP_1) | instskip(NEXT) | instid1(VALU_DEP_1)
	v_fmac_f32_e32 v138, v94, v160
	v_fmac_f32_e32 v138, v105, v161
	s_delay_alu instid0(VALU_DEP_1) | instskip(SKIP_3) | instid1(VALU_DEP_1)
	v_fmac_f32_e32 v138, v116, v162
	ds_load_b128 v[159:162], v3 offset:944
	s_waitcnt lgkmcnt(1)
	v_fmac_f32_e32 v138, v41, v147
	v_fmac_f32_e32 v138, v46, v148
	s_delay_alu instid0(VALU_DEP_1) | instskip(NEXT) | instid1(VALU_DEP_1)
	v_fmac_f32_e32 v138, v54, v149
	v_fmac_f32_e32 v138, v64, v150
	ds_load_b128 v[147:150], v3 offset:960
	s_waitcnt lgkmcnt(1)
	v_fmac_f32_e32 v138, v76, v159
	s_delay_alu instid0(VALU_DEP_1) | instskip(NEXT) | instid1(VALU_DEP_1)
	v_fmac_f32_e32 v138, v86, v160
	v_fmac_f32_e32 v138, v98, v161
	s_delay_alu instid0(VALU_DEP_1) | instskip(SKIP_3) | instid1(VALU_DEP_1)
	v_fmac_f32_e32 v138, v109, v162
	ds_load_b128 v[159:162], v3 offset:976
	s_waitcnt lgkmcnt(1)
	v_fmac_f32_e32 v138, v39, v147
	v_fmac_f32_e32 v138, v43, v148
	s_delay_alu instid0(VALU_DEP_1) | instskip(NEXT) | instid1(VALU_DEP_1)
	v_fmac_f32_e32 v138, v50, v149
	v_fmac_f32_e32 v138, v59, v150
	ds_load_b128 v[147:150], v3 offset:992
	s_waitcnt lgkmcnt(1)
	v_fmac_f32_e32 v138, v70, v159
	s_delay_alu instid0(VALU_DEP_1) | instskip(NEXT) | instid1(VALU_DEP_1)
	v_fmac_f32_e32 v138, v81, v160
	v_fmac_f32_e32 v138, v92, v161
	s_delay_alu instid0(VALU_DEP_1)
	v_fmac_f32_e32 v138, v103, v162
	ds_load_b128 v[159:162], v3 offset:1008
	v_mul_f32_e32 v47, v47, v139
	v_mul_f32_e32 v55, v55, v140
	v_mul_f32_e32 v65, v65, v141
	v_mul_f32_e32 v77, v77, v142
	v_add_co_u32 v139, vcc_lo, s18, v5
	v_fmac_f32_e32 v47, v137, v143
	v_fmac_f32_e32 v55, v137, v144
	;; [unrolled: 1-line block ×4, first 2 shown]
	v_add_co_ci_u32_e32 v140, vcc_lo, s19, v6, vcc_lo
	s_waitcnt lgkmcnt(1)
	v_fmac_f32_e32 v138, v47, v147
	v_add_co_u32 v5, vcc_lo, v5, s2
	v_add_co_ci_u32_e32 v6, vcc_lo, s3, v6, vcc_lo
	s_delay_alu instid0(VALU_DEP_3) | instskip(NEXT) | instid1(VALU_DEP_1)
	v_fmac_f32_e32 v138, v55, v148
	v_fmac_f32_e32 v138, v65, v149
	s_delay_alu instid0(VALU_DEP_1) | instskip(SKIP_1) | instid1(VALU_DEP_1)
	v_fmac_f32_e32 v138, v77, v150
	s_waitcnt lgkmcnt(0)
	v_fmac_f32_e32 v138, v87, v159
	s_delay_alu instid0(VALU_DEP_1) | instskip(NEXT) | instid1(VALU_DEP_1)
	v_fmac_f32_e32 v138, v99, v160
	v_fmac_f32_e32 v138, v110, v161
	s_delay_alu instid0(VALU_DEP_1) | instskip(NEXT) | instid1(VALU_DEP_1)
	v_fmac_f32_e32 v138, v134, v162
	v_mul_f32_e32 v137, s14, v138
	global_store_b32 v[139:140], v137, off
	s_and_not1_b32 exec_lo, exec_lo, s12
	s_cbranch_execnz .LBB1_2
; %bb.3:
	s_or_b32 exec_lo, exec_lo, s12
.LBB1_4:
	s_delay_alu instid0(SALU_CYCLE_1) | instskip(SKIP_1) | instid1(VALU_DEP_1)
	s_or_b32 exec_lo, exec_lo, s13
	v_mad_u64_u32 v[2:3], null, s22, s21, v[1:2]
	v_ashrrev_i32_e32 v3, 31, v2
	v_add_nc_u32_e32 v0, 0x400, v2
	v_add_nc_u32_e32 v4, 0x480, v2
	;; [unrolled: 1-line block ×4, first 2 shown]
	v_lshlrev_b64 v[135:136], 2, v[2:3]
	v_ashrrev_i32_e32 v1, 31, v0
	v_ashrrev_i32_e32 v5, 31, v4
	v_add_nc_u32_e32 v3, 0x580, v2
	v_ashrrev_i32_e32 v138, 31, v137
	v_add_nc_u32_e32 v141, 0x900, v2
	v_add_co_u32 v135, vcc_lo, s18, v135
	v_add_co_ci_u32_e32 v136, vcc_lo, s19, v136, vcc_lo
	v_lshlrev_b64 v[0:1], 2, v[0:1]
	v_lshlrev_b64 v[5:6], 2, v[4:5]
	v_ashrrev_i32_e32 v4, 31, v3
	s_clause 0x7
	global_store_b32 v[135:136], v17, off
	global_store_b32 v[135:136], v16, off offset:512
	global_store_b32 v[135:136], v15, off offset:1024
	;; [unrolled: 1-line block ×7, first 2 shown]
	v_add_nc_u32_e32 v12, 0x600, v2
	v_add_nc_u32_e32 v14, 0x680, v2
	v_add_co_u32 v0, vcc_lo, s18, v0
	v_lshlrev_b64 v[10:11], 2, v[137:138]
	s_delay_alu instid0(VALU_DEP_4)
	v_ashrrev_i32_e32 v13, 31, v12
	v_add_co_ci_u32_e32 v1, vcc_lo, s19, v1, vcc_lo
	v_add_nc_u32_e32 v16, 0x700, v2
	v_add_co_u32 v5, vcc_lo, s18, v5
	v_lshlrev_b64 v[3:4], 2, v[3:4]
	v_ashrrev_i32_e32 v15, 31, v14
	v_add_co_ci_u32_e32 v6, vcc_lo, s19, v6, vcc_lo
	v_add_nc_u32_e32 v135, 0x780, v2
	v_add_co_u32 v10, vcc_lo, s18, v10
	v_lshlrev_b64 v[12:13], 2, v[12:13]
	v_ashrrev_i32_e32 v17, 31, v16
	v_add_co_ci_u32_e32 v11, vcc_lo, s19, v11, vcc_lo
	v_add_co_u32 v3, vcc_lo, s18, v3
	v_lshlrev_b64 v[14:15], 2, v[14:15]
	v_ashrrev_i32_e32 v136, 31, v135
	v_add_co_ci_u32_e32 v4, vcc_lo, s19, v4, vcc_lo
	v_add_co_u32 v12, vcc_lo, s18, v12
	v_lshlrev_b64 v[16:17], 2, v[16:17]
	v_add_co_ci_u32_e32 v13, vcc_lo, s19, v13, vcc_lo
	v_add_nc_u32_e32 v137, 0x800, v2
	v_add_co_u32 v14, vcc_lo, s18, v14
	v_lshlrev_b64 v[135:136], 2, v[135:136]
	v_add_co_ci_u32_e32 v15, vcc_lo, s19, v15, vcc_lo
	v_add_co_u32 v16, vcc_lo, s18, v16
	v_ashrrev_i32_e32 v138, 31, v137
	v_add_co_ci_u32_e32 v17, vcc_lo, s19, v17, vcc_lo
	v_add_co_u32 v135, vcc_lo, s18, v135
	v_ashrrev_i32_e32 v140, 31, v139
	v_add_co_ci_u32_e32 v136, vcc_lo, s19, v136, vcc_lo
	s_clause 0x7
	global_store_b32 v[0:1], v7, off
	global_store_b32 v[5:6], v8, off
	global_store_b32 v[10:11], v9, off
	global_store_b32 v[3:4], v19, off
	global_store_b32 v[12:13], v21, off
	global_store_b32 v[14:15], v23, off
	global_store_b32 v[16:17], v24, off
	global_store_b32 v[135:136], v25, off
	v_add_nc_u32_e32 v3, 0x980, v2
	v_lshlrev_b64 v[137:138], 2, v[137:138]
	v_ashrrev_i32_e32 v142, 31, v141
	v_add_nc_u32_e32 v9, 0xa00, v2
	v_lshlrev_b64 v[0:1], 2, v[139:140]
	v_ashrrev_i32_e32 v4, 31, v3
	v_add_nc_u32_e32 v11, 0xa80, v2
	v_add_co_u32 v5, vcc_lo, s18, v137
	v_lshlrev_b64 v[7:8], 2, v[141:142]
	v_ashrrev_i32_e32 v10, 31, v9
	v_add_co_ci_u32_e32 v6, vcc_lo, s19, v138, vcc_lo
	v_add_nc_u32_e32 v13, 0xb00, v2
	v_add_co_u32 v0, vcc_lo, s18, v0
	v_lshlrev_b64 v[3:4], 2, v[3:4]
	v_ashrrev_i32_e32 v12, 31, v11
	v_add_co_ci_u32_e32 v1, vcc_lo, s19, v1, vcc_lo
	v_add_nc_u32_e32 v15, 0xb80, v2
	v_add_co_u32 v7, vcc_lo, s18, v7
	v_lshlrev_b64 v[9:10], 2, v[9:10]
	v_ashrrev_i32_e32 v14, 31, v13
	v_add_co_ci_u32_e32 v8, vcc_lo, s19, v8, vcc_lo
	v_add_co_u32 v3, vcc_lo, s18, v3
	v_lshlrev_b64 v[11:12], 2, v[11:12]
	v_ashrrev_i32_e32 v16, 31, v15
	v_add_co_ci_u32_e32 v4, vcc_lo, s19, v4, vcc_lo
	v_add_co_u32 v9, vcc_lo, s18, v9
	v_lshlrev_b64 v[13:14], 2, v[13:14]
	v_add_co_ci_u32_e32 v10, vcc_lo, s19, v10, vcc_lo
	v_add_nc_u32_e32 v23, 0xc00, v2
	v_add_co_u32 v11, vcc_lo, s18, v11
	v_lshlrev_b64 v[15:16], 2, v[15:16]
	v_add_co_ci_u32_e32 v12, vcc_lo, s19, v12, vcc_lo
	v_add_nc_u32_e32 v135, 0xc80, v2
	v_add_co_u32 v13, vcc_lo, s18, v13
	v_ashrrev_i32_e32 v24, 31, v23
	v_add_co_ci_u32_e32 v14, vcc_lo, s19, v14, vcc_lo
	v_add_nc_u32_e32 v17, 0xd00, v2
	v_add_co_u32 v15, vcc_lo, s18, v15
	v_ashrrev_i32_e32 v136, 31, v135
	v_add_co_ci_u32_e32 v16, vcc_lo, s19, v16, vcc_lo
	s_clause 0x7
	global_store_b32 v[5:6], v18, off
	global_store_b32 v[0:1], v20, off
	global_store_b32 v[7:8], v22, off
	global_store_b32 v[3:4], v26, off
	global_store_b32 v[9:10], v28, off
	global_store_b32 v[11:12], v30, off
	global_store_b32 v[13:14], v33, off
	global_store_b32 v[15:16], v36, off
	v_add_nc_u32_e32 v3, 0xd80, v2
	v_lshlrev_b64 v[23:24], 2, v[23:24]
	v_ashrrev_i32_e32 v18, 31, v17
	v_add_nc_u32_e32 v9, 0xe00, v2
	v_lshlrev_b64 v[0:1], 2, v[135:136]
	v_ashrrev_i32_e32 v4, 31, v3
	v_add_nc_u32_e32 v11, 0xe80, v2
	v_add_co_u32 v5, vcc_lo, s18, v23
	v_lshlrev_b64 v[7:8], 2, v[17:18]
	v_ashrrev_i32_e32 v10, 31, v9
	v_add_co_ci_u32_e32 v6, vcc_lo, s19, v24, vcc_lo
	v_add_nc_u32_e32 v13, 0xf00, v2
	v_add_co_u32 v0, vcc_lo, s18, v0
	v_lshlrev_b64 v[3:4], 2, v[3:4]
	v_ashrrev_i32_e32 v12, 31, v11
	v_add_co_ci_u32_e32 v1, vcc_lo, s19, v1, vcc_lo
	v_add_nc_u32_e32 v15, 0xf80, v2
	v_add_co_u32 v7, vcc_lo, s18, v7
	v_lshlrev_b64 v[9:10], 2, v[9:10]
	v_ashrrev_i32_e32 v14, 31, v13
	v_add_co_ci_u32_e32 v8, vcc_lo, s19, v8, vcc_lo
	v_add_co_u32 v3, vcc_lo, s18, v3
	v_lshlrev_b64 v[11:12], 2, v[11:12]
	v_ashrrev_i32_e32 v16, 31, v15
	v_add_co_ci_u32_e32 v4, vcc_lo, s19, v4, vcc_lo
	v_add_co_u32 v9, vcc_lo, s18, v9
	v_lshlrev_b64 v[13:14], 2, v[13:14]
	v_add_co_ci_u32_e32 v10, vcc_lo, s19, v10, vcc_lo
	v_add_nc_u32_e32 v17, 0x1000, v2
	v_add_co_u32 v11, vcc_lo, s18, v11
	v_lshlrev_b64 v[15:16], 2, v[15:16]
	v_add_co_ci_u32_e32 v12, vcc_lo, s19, v12, vcc_lo
	v_add_nc_u32_e32 v19, 0x1080, v2
	v_add_co_u32 v13, vcc_lo, s18, v13
	v_ashrrev_i32_e32 v18, 31, v17
	v_add_co_ci_u32_e32 v14, vcc_lo, s19, v14, vcc_lo
	v_add_nc_u32_e32 v21, 0x1100, v2
	;; [unrolled: 49-line block ×7, first 2 shown]
	v_add_co_u32 v15, vcc_lo, s18, v15
	v_ashrrev_i32_e32 v20, 31, v19
	v_add_co_ci_u32_e32 v16, vcc_lo, s19, v16, vcc_lo
	s_clause 0x1
	global_store_b32 v[5:6], v63, off
	global_store_b32 v[0:1], v75, off
	s_waitcnt vmcnt(61)
	global_store_b32 v[7:8], v85, off
	s_waitcnt vmcnt(60)
	global_store_b32 v[3:4], v97, off
	s_waitcnt vmcnt(59)
	global_store_b32 v[9:10], v108, off
	s_waitcnt vmcnt(58)
	global_store_b32 v[11:12], v118, off
	s_waitcnt vmcnt(57)
	global_store_b32 v[13:14], v125, off
	s_waitcnt vmcnt(56)
	global_store_b32 v[15:16], v129, off
	v_add_nc_u32_e32 v3, 0x2580, v2
	v_lshlrev_b64 v[17:18], 2, v[17:18]
	v_ashrrev_i32_e32 v22, 31, v21
	v_add_nc_u32_e32 v9, 0x2600, v2
	v_lshlrev_b64 v[0:1], 2, v[19:20]
	v_ashrrev_i32_e32 v4, 31, v3
	v_add_nc_u32_e32 v11, 0x2680, v2
	v_add_co_u32 v5, vcc_lo, s18, v17
	v_lshlrev_b64 v[7:8], 2, v[21:22]
	v_ashrrev_i32_e32 v10, 31, v9
	v_add_co_ci_u32_e32 v6, vcc_lo, s19, v18, vcc_lo
	v_add_nc_u32_e32 v13, 0x2700, v2
	v_add_co_u32 v0, vcc_lo, s18, v0
	v_lshlrev_b64 v[3:4], 2, v[3:4]
	v_ashrrev_i32_e32 v12, 31, v11
	v_add_co_ci_u32_e32 v1, vcc_lo, s19, v1, vcc_lo
	v_add_nc_u32_e32 v15, 0x2780, v2
	v_add_co_u32 v7, vcc_lo, s18, v7
	v_lshlrev_b64 v[9:10], 2, v[9:10]
	v_ashrrev_i32_e32 v14, 31, v13
	v_add_co_ci_u32_e32 v8, vcc_lo, s19, v8, vcc_lo
	v_add_co_u32 v3, vcc_lo, s18, v3
	v_lshlrev_b64 v[11:12], 2, v[11:12]
	v_ashrrev_i32_e32 v16, 31, v15
	v_add_co_ci_u32_e32 v4, vcc_lo, s19, v4, vcc_lo
	v_add_co_u32 v9, vcc_lo, s18, v9
	v_lshlrev_b64 v[13:14], 2, v[13:14]
	v_add_co_ci_u32_e32 v10, vcc_lo, s19, v10, vcc_lo
	v_add_nc_u32_e32 v17, 0x2800, v2
	v_add_co_u32 v11, vcc_lo, s18, v11
	v_lshlrev_b64 v[15:16], 2, v[15:16]
	v_add_co_ci_u32_e32 v12, vcc_lo, s19, v12, vcc_lo
	v_add_nc_u32_e32 v19, 0x2880, v2
	v_add_co_u32 v13, vcc_lo, s18, v13
	v_ashrrev_i32_e32 v18, 31, v17
	v_add_co_ci_u32_e32 v14, vcc_lo, s19, v14, vcc_lo
	v_add_nc_u32_e32 v21, 0x2900, v2
	v_add_co_u32 v15, vcc_lo, s18, v15
	v_ashrrev_i32_e32 v20, 31, v19
	v_add_co_ci_u32_e32 v16, vcc_lo, s19, v16, vcc_lo
	s_waitcnt vmcnt(55)
	global_store_b32 v[5:6], v58, off
	s_waitcnt vmcnt(54)
	global_store_b32 v[0:1], v68, off
	s_waitcnt vmcnt(53)
	global_store_b32 v[7:8], v80, off
	s_waitcnt vmcnt(52)
	global_store_b32 v[3:4], v91, off
	s_waitcnt vmcnt(51)
	global_store_b32 v[9:10], v102, off
	s_waitcnt vmcnt(50)
	global_store_b32 v[11:12], v114, off
	s_waitcnt vmcnt(49)
	global_store_b32 v[13:14], v121, off
	s_waitcnt vmcnt(48)
	global_store_b32 v[15:16], v127, off
	v_add_nc_u32_e32 v3, 0x2980, v2
	v_lshlrev_b64 v[17:18], 2, v[17:18]
	v_ashrrev_i32_e32 v22, 31, v21
	v_add_nc_u32_e32 v9, 0x2a00, v2
	v_lshlrev_b64 v[0:1], 2, v[19:20]
	v_ashrrev_i32_e32 v4, 31, v3
	v_add_nc_u32_e32 v11, 0x2a80, v2
	v_add_co_u32 v5, vcc_lo, s18, v17
	v_lshlrev_b64 v[7:8], 2, v[21:22]
	v_ashrrev_i32_e32 v10, 31, v9
	v_add_co_ci_u32_e32 v6, vcc_lo, s19, v18, vcc_lo
	v_add_nc_u32_e32 v13, 0x2b00, v2
	v_add_co_u32 v0, vcc_lo, s18, v0
	v_lshlrev_b64 v[3:4], 2, v[3:4]
	v_ashrrev_i32_e32 v12, 31, v11
	v_add_co_ci_u32_e32 v1, vcc_lo, s19, v1, vcc_lo
	v_add_nc_u32_e32 v15, 0x2b80, v2
	v_add_co_u32 v7, vcc_lo, s18, v7
	v_lshlrev_b64 v[9:10], 2, v[9:10]
	v_ashrrev_i32_e32 v14, 31, v13
	v_add_co_ci_u32_e32 v8, vcc_lo, s19, v8, vcc_lo
	v_add_co_u32 v3, vcc_lo, s18, v3
	v_lshlrev_b64 v[11:12], 2, v[11:12]
	v_ashrrev_i32_e32 v16, 31, v15
	v_add_co_ci_u32_e32 v4, vcc_lo, s19, v4, vcc_lo
	v_add_co_u32 v9, vcc_lo, s18, v9
	v_lshlrev_b64 v[13:14], 2, v[13:14]
	v_add_co_ci_u32_e32 v10, vcc_lo, s19, v10, vcc_lo
	v_add_nc_u32_e32 v17, 0x2c00, v2
	v_add_co_u32 v11, vcc_lo, s18, v11
	v_lshlrev_b64 v[15:16], 2, v[15:16]
	v_add_co_ci_u32_e32 v12, vcc_lo, s19, v12, vcc_lo
	v_add_nc_u32_e32 v19, 0x2c80, v2
	v_add_co_u32 v13, vcc_lo, s18, v13
	v_ashrrev_i32_e32 v18, 31, v17
	v_add_co_ci_u32_e32 v14, vcc_lo, s19, v14, vcc_lo
	v_add_nc_u32_e32 v21, 0x2d00, v2
	v_add_co_u32 v15, vcc_lo, s18, v15
	v_ashrrev_i32_e32 v20, 31, v19
	v_add_co_ci_u32_e32 v16, vcc_lo, s19, v16, vcc_lo
	s_waitcnt vmcnt(47)
	global_store_b32 v[5:6], v52, off
	s_waitcnt vmcnt(46)
	;; [unrolled: 56-line block ×6, first 2 shown]
	global_store_b32 v[0:1], v43, off
	s_waitcnt vmcnt(13)
	global_store_b32 v[7:8], v50, off
	s_waitcnt vmcnt(12)
	;; [unrolled: 2-line block ×6, first 2 shown]
	global_store_b32 v[15:16], v103, off
	v_add_nc_u32_e32 v3, 0x3d80, v2
	v_lshlrev_b64 v[17:18], 2, v[17:18]
	v_ashrrev_i32_e32 v22, 31, v21
	v_add_nc_u32_e32 v9, 0x3e00, v2
	v_lshlrev_b64 v[0:1], 2, v[19:20]
	v_ashrrev_i32_e32 v4, 31, v3
	v_add_nc_u32_e32 v11, 0x3e80, v2
	v_add_co_u32 v5, vcc_lo, s18, v17
	v_lshlrev_b64 v[7:8], 2, v[21:22]
	v_ashrrev_i32_e32 v10, 31, v9
	v_add_co_ci_u32_e32 v6, vcc_lo, s19, v18, vcc_lo
	v_add_nc_u32_e32 v13, 0x3f00, v2
	v_add_co_u32 v0, vcc_lo, s18, v0
	v_lshlrev_b64 v[3:4], 2, v[3:4]
	v_ashrrev_i32_e32 v12, 31, v11
	v_add_co_ci_u32_e32 v1, vcc_lo, s19, v1, vcc_lo
	;; [unrolled: 5-line block ×3, first 2 shown]
	v_add_co_u32 v3, vcc_lo, s18, v3
	v_lshlrev_b64 v[11:12], 2, v[11:12]
	v_ashrrev_i32_e32 v16, 31, v15
	v_add_co_ci_u32_e32 v4, vcc_lo, s19, v4, vcc_lo
	v_add_co_u32 v9, vcc_lo, s18, v9
	v_lshlrev_b64 v[13:14], 2, v[13:14]
	v_add_co_ci_u32_e32 v10, vcc_lo, s19, v10, vcc_lo
	v_add_co_u32 v11, vcc_lo, s18, v11
	v_lshlrev_b64 v[15:16], 2, v[15:16]
	v_add_co_ci_u32_e32 v12, vcc_lo, s19, v12, vcc_lo
	v_add_co_u32 v13, vcc_lo, s18, v13
	v_add_co_ci_u32_e32 v14, vcc_lo, s19, v14, vcc_lo
	s_delay_alu instid0(VALU_DEP_4)
	v_add_co_u32 v15, vcc_lo, s18, v15
	v_add_co_ci_u32_e32 v16, vcc_lo, s19, v16, vcc_lo
	s_waitcnt vmcnt(7)
	global_store_b32 v[5:6], v47, off
	s_waitcnt vmcnt(6)
	global_store_b32 v[0:1], v55, off
	s_waitcnt vmcnt(5)
	global_store_b32 v[7:8], v65, off
	s_waitcnt vmcnt(4)
	global_store_b32 v[3:4], v77, off
	s_waitcnt vmcnt(3)
	global_store_b32 v[9:10], v87, off
	s_waitcnt vmcnt(2)
	global_store_b32 v[11:12], v99, off
	s_waitcnt vmcnt(1)
	global_store_b32 v[13:14], v110, off
	s_waitcnt vmcnt(0)
	global_store_b32 v[15:16], v134, off
	s_nop 0
	s_sendmsg sendmsg(MSG_DEALLOC_VGPRS)
	s_endpgm
	.section	.rodata,"a",@progbits
	.p2align	6, 0x0
	.amdhsa_kernel _ZL21gated_linear_attn_f32ILi128EEviiiifPKfS1_S1_S1_S1_Pf
		.amdhsa_group_segment_fixed_size 1536
		.amdhsa_private_segment_fixed_size 0
		.amdhsa_kernarg_size 72
		.amdhsa_user_sgpr_count 15
		.amdhsa_user_sgpr_dispatch_ptr 0
		.amdhsa_user_sgpr_queue_ptr 0
		.amdhsa_user_sgpr_kernarg_segment_ptr 1
		.amdhsa_user_sgpr_dispatch_id 0
		.amdhsa_user_sgpr_private_segment_size 0
		.amdhsa_wavefront_size32 1
		.amdhsa_uses_dynamic_stack 0
		.amdhsa_enable_private_segment 0
		.amdhsa_system_sgpr_workgroup_id_x 1
		.amdhsa_system_sgpr_workgroup_id_y 0
		.amdhsa_system_sgpr_workgroup_id_z 0
		.amdhsa_system_sgpr_workgroup_info 0
		.amdhsa_system_vgpr_workitem_id 0
		.amdhsa_next_free_vgpr 163
		.amdhsa_next_free_sgpr 24
		.amdhsa_reserve_vcc 1
		.amdhsa_float_round_mode_32 0
		.amdhsa_float_round_mode_16_64 0
		.amdhsa_float_denorm_mode_32 3
		.amdhsa_float_denorm_mode_16_64 3
		.amdhsa_dx10_clamp 1
		.amdhsa_ieee_mode 1
		.amdhsa_fp16_overflow 0
		.amdhsa_workgroup_processor_mode 1
		.amdhsa_memory_ordered 1
		.amdhsa_forward_progress 0
		.amdhsa_shared_vgpr_count 0
		.amdhsa_exception_fp_ieee_invalid_op 0
		.amdhsa_exception_fp_denorm_src 0
		.amdhsa_exception_fp_ieee_div_zero 0
		.amdhsa_exception_fp_ieee_overflow 0
		.amdhsa_exception_fp_ieee_underflow 0
		.amdhsa_exception_fp_ieee_inexact 0
		.amdhsa_exception_int_div_zero 0
	.end_amdhsa_kernel
	.section	.text._ZL21gated_linear_attn_f32ILi128EEviiiifPKfS1_S1_S1_S1_Pf,"axG",@progbits,_ZL21gated_linear_attn_f32ILi128EEviiiifPKfS1_S1_S1_S1_Pf,comdat
.Lfunc_end1:
	.size	_ZL21gated_linear_attn_f32ILi128EEviiiifPKfS1_S1_S1_S1_Pf, .Lfunc_end1-_ZL21gated_linear_attn_f32ILi128EEviiiifPKfS1_S1_S1_S1_Pf
                                        ; -- End function
	.section	.AMDGPU.csdata,"",@progbits
; Kernel info:
; codeLenInByte = 14616
; NumSgprs: 26
; NumVgprs: 163
; ScratchSize: 0
; MemoryBound: 0
; FloatMode: 240
; IeeeMode: 1
; LDSByteSize: 1536 bytes/workgroup (compile time only)
; SGPRBlocks: 3
; VGPRBlocks: 20
; NumSGPRsForWavesPerEU: 26
; NumVGPRsForWavesPerEU: 163
; Occupancy: 9
; WaveLimiterHint : 1
; COMPUTE_PGM_RSRC2:SCRATCH_EN: 0
; COMPUTE_PGM_RSRC2:USER_SGPR: 15
; COMPUTE_PGM_RSRC2:TRAP_HANDLER: 0
; COMPUTE_PGM_RSRC2:TGID_X_EN: 1
; COMPUTE_PGM_RSRC2:TGID_Y_EN: 0
; COMPUTE_PGM_RSRC2:TGID_Z_EN: 0
; COMPUTE_PGM_RSRC2:TIDIG_COMP_CNT: 0
	.text
	.p2alignl 7, 3214868480
	.fill 96, 4, 3214868480
	.type	__hip_cuid_ebbb46eae432db83,@object ; @__hip_cuid_ebbb46eae432db83
	.section	.bss,"aw",@nobits
	.globl	__hip_cuid_ebbb46eae432db83
__hip_cuid_ebbb46eae432db83:
	.byte	0                               ; 0x0
	.size	__hip_cuid_ebbb46eae432db83, 1

	.ident	"AMD clang version 19.0.0git (https://github.com/RadeonOpenCompute/llvm-project roc-6.4.0 25133 c7fe45cf4b819c5991fe208aaa96edf142730f1d)"
	.section	".note.GNU-stack","",@progbits
	.addrsig
	.addrsig_sym __hip_cuid_ebbb46eae432db83
	.amdgpu_metadata
---
amdhsa.kernels:
  - .args:
      - .offset:         0
        .size:           4
        .value_kind:     by_value
      - .offset:         4
        .size:           4
        .value_kind:     by_value
      - .offset:         8
        .size:           4
        .value_kind:     by_value
      - .offset:         12
        .size:           4
        .value_kind:     by_value
      - .offset:         16
        .size:           4
        .value_kind:     by_value
      - .address_space:  global
        .offset:         24
        .size:           8
        .value_kind:     global_buffer
      - .address_space:  global
        .offset:         32
        .size:           8
        .value_kind:     global_buffer
      - .address_space:  global
        .offset:         40
        .size:           8
        .value_kind:     global_buffer
      - .address_space:  global
        .offset:         48
        .size:           8
        .value_kind:     global_buffer
      - .address_space:  global
        .offset:         56
        .size:           8
        .value_kind:     global_buffer
      - .address_space:  global
        .offset:         64
        .size:           8
        .value_kind:     global_buffer
    .group_segment_fixed_size: 768
    .kernarg_segment_align: 8
    .kernarg_segment_size: 72
    .language:       OpenCL C
    .language_version:
      - 2
      - 0
    .max_flat_workgroup_size: 1024
    .name:           _ZL21gated_linear_attn_f32ILi64EEviiiifPKfS1_S1_S1_S1_Pf
    .private_segment_fixed_size: 0
    .sgpr_count:     26
    .sgpr_spill_count: 0
    .symbol:         _ZL21gated_linear_attn_f32ILi64EEviiiifPKfS1_S1_S1_S1_Pf.kd
    .uniform_work_group_size: 1
    .uses_dynamic_stack: false
    .vgpr_count:     91
    .vgpr_spill_count: 0
    .wavefront_size: 32
    .workgroup_processor_mode: 1
  - .args:
      - .offset:         0
        .size:           4
        .value_kind:     by_value
      - .offset:         4
        .size:           4
        .value_kind:     by_value
      - .offset:         8
        .size:           4
        .value_kind:     by_value
      - .offset:         12
        .size:           4
        .value_kind:     by_value
      - .offset:         16
        .size:           4
        .value_kind:     by_value
      - .address_space:  global
        .offset:         24
        .size:           8
        .value_kind:     global_buffer
      - .address_space:  global
        .offset:         32
        .size:           8
        .value_kind:     global_buffer
      - .address_space:  global
        .offset:         40
        .size:           8
        .value_kind:     global_buffer
      - .address_space:  global
        .offset:         48
        .size:           8
        .value_kind:     global_buffer
      - .address_space:  global
        .offset:         56
        .size:           8
        .value_kind:     global_buffer
      - .address_space:  global
        .offset:         64
        .size:           8
        .value_kind:     global_buffer
    .group_segment_fixed_size: 1536
    .kernarg_segment_align: 8
    .kernarg_segment_size: 72
    .language:       OpenCL C
    .language_version:
      - 2
      - 0
    .max_flat_workgroup_size: 1024
    .name:           _ZL21gated_linear_attn_f32ILi128EEviiiifPKfS1_S1_S1_S1_Pf
    .private_segment_fixed_size: 0
    .sgpr_count:     26
    .sgpr_spill_count: 0
    .symbol:         _ZL21gated_linear_attn_f32ILi128EEviiiifPKfS1_S1_S1_S1_Pf.kd
    .uniform_work_group_size: 1
    .uses_dynamic_stack: false
    .vgpr_count:     163
    .vgpr_spill_count: 0
    .wavefront_size: 32
    .workgroup_processor_mode: 1
amdhsa.target:   amdgcn-amd-amdhsa--gfx1100
amdhsa.version:
  - 1
  - 2
...

	.end_amdgpu_metadata
